;; amdgpu-corpus repo=ROCm/rocFFT kind=compiled arch=gfx906 opt=O3
	.text
	.amdgcn_target "amdgcn-amd-amdhsa--gfx906"
	.amdhsa_code_object_version 6
	.protected	fft_rtc_fwd_len1020_factors_2_17_2_3_5_wgs_204_tpt_68_halfLds_half_ip_CI_sbrr_dirReg ; -- Begin function fft_rtc_fwd_len1020_factors_2_17_2_3_5_wgs_204_tpt_68_halfLds_half_ip_CI_sbrr_dirReg
	.globl	fft_rtc_fwd_len1020_factors_2_17_2_3_5_wgs_204_tpt_68_halfLds_half_ip_CI_sbrr_dirReg
	.p2align	8
	.type	fft_rtc_fwd_len1020_factors_2_17_2_3_5_wgs_204_tpt_68_halfLds_half_ip_CI_sbrr_dirReg,@function
fft_rtc_fwd_len1020_factors_2_17_2_3_5_wgs_204_tpt_68_halfLds_half_ip_CI_sbrr_dirReg: ; @fft_rtc_fwd_len1020_factors_2_17_2_3_5_wgs_204_tpt_68_halfLds_half_ip_CI_sbrr_dirReg
; %bb.0:
	s_load_dwordx2 s[2:3], s[4:5], 0x18
	s_load_dwordx4 s[8:11], s[4:5], 0x0
	s_load_dwordx2 s[14:15], s[4:5], 0x50
	v_mul_u32_u24_e32 v1, 0x3c4, v0
	v_lshrrev_b32_e32 v1, 16, v1
	s_waitcnt lgkmcnt(0)
	s_load_dwordx2 s[12:13], s[2:3], 0x0
	v_mad_u64_u32 v[2:3], s[0:1], s6, 3, v[1:2]
	v_mov_b32_e32 v6, 0
	v_cmp_lt_u64_e64 s[0:1], s[10:11], 2
	v_mov_b32_e32 v3, v6
	v_mov_b32_e32 v4, 0
	;; [unrolled: 1-line block ×3, first 2 shown]
	s_and_b64 vcc, exec, s[0:1]
	v_mov_b32_e32 v5, 0
	v_mov_b32_e32 v10, v2
	s_cbranch_vccnz .LBB0_8
; %bb.1:
	s_load_dwordx2 s[0:1], s[4:5], 0x10
	s_add_u32 s6, s2, 8
	s_addc_u32 s7, s3, 0
	v_mov_b32_e32 v4, 0
	v_mov_b32_e32 v9, v3
	s_waitcnt lgkmcnt(0)
	s_add_u32 s18, s0, 8
	s_mov_b64 s[16:17], 1
	v_mov_b32_e32 v5, 0
	s_addc_u32 s19, s1, 0
	v_mov_b32_e32 v8, v2
.LBB0_2:                                ; =>This Inner Loop Header: Depth=1
	s_load_dwordx2 s[20:21], s[18:19], 0x0
                                        ; implicit-def: $vgpr10_vgpr11
	s_waitcnt lgkmcnt(0)
	v_or_b32_e32 v7, s21, v9
	v_cmp_ne_u64_e32 vcc, 0, v[6:7]
	s_and_saveexec_b64 s[0:1], vcc
	s_xor_b64 s[22:23], exec, s[0:1]
	s_cbranch_execz .LBB0_4
; %bb.3:                                ;   in Loop: Header=BB0_2 Depth=1
	v_cvt_f32_u32_e32 v1, s20
	v_cvt_f32_u32_e32 v3, s21
	s_sub_u32 s0, 0, s20
	s_subb_u32 s1, 0, s21
	v_mac_f32_e32 v1, 0x4f800000, v3
	v_rcp_f32_e32 v1, v1
	v_mul_f32_e32 v1, 0x5f7ffffc, v1
	v_mul_f32_e32 v3, 0x2f800000, v1
	v_trunc_f32_e32 v3, v3
	v_mac_f32_e32 v1, 0xcf800000, v3
	v_cvt_u32_f32_e32 v3, v3
	v_cvt_u32_f32_e32 v1, v1
	v_mul_lo_u32 v7, s0, v3
	v_mul_hi_u32 v10, s0, v1
	v_mul_lo_u32 v12, s1, v1
	v_mul_lo_u32 v11, s0, v1
	v_add_u32_e32 v7, v10, v7
	v_add_u32_e32 v7, v7, v12
	v_mul_hi_u32 v10, v1, v11
	v_mul_lo_u32 v12, v1, v7
	v_mul_hi_u32 v14, v1, v7
	v_mul_hi_u32 v13, v3, v11
	v_mul_lo_u32 v11, v3, v11
	v_mul_hi_u32 v15, v3, v7
	v_add_co_u32_e32 v10, vcc, v10, v12
	v_addc_co_u32_e32 v12, vcc, 0, v14, vcc
	v_mul_lo_u32 v7, v3, v7
	v_add_co_u32_e32 v10, vcc, v10, v11
	v_addc_co_u32_e32 v10, vcc, v12, v13, vcc
	v_addc_co_u32_e32 v11, vcc, 0, v15, vcc
	v_add_co_u32_e32 v7, vcc, v10, v7
	v_addc_co_u32_e32 v10, vcc, 0, v11, vcc
	v_add_co_u32_e32 v1, vcc, v1, v7
	v_addc_co_u32_e32 v3, vcc, v3, v10, vcc
	v_mul_lo_u32 v7, s0, v3
	v_mul_hi_u32 v10, s0, v1
	v_mul_lo_u32 v11, s1, v1
	v_mul_lo_u32 v12, s0, v1
	v_add_u32_e32 v7, v10, v7
	v_add_u32_e32 v7, v7, v11
	v_mul_lo_u32 v13, v1, v7
	v_mul_hi_u32 v14, v1, v12
	v_mul_hi_u32 v15, v1, v7
	;; [unrolled: 1-line block ×3, first 2 shown]
	v_mul_lo_u32 v12, v3, v12
	v_mul_hi_u32 v10, v3, v7
	v_add_co_u32_e32 v13, vcc, v14, v13
	v_addc_co_u32_e32 v14, vcc, 0, v15, vcc
	v_mul_lo_u32 v7, v3, v7
	v_add_co_u32_e32 v12, vcc, v13, v12
	v_addc_co_u32_e32 v11, vcc, v14, v11, vcc
	v_addc_co_u32_e32 v10, vcc, 0, v10, vcc
	v_add_co_u32_e32 v7, vcc, v11, v7
	v_addc_co_u32_e32 v10, vcc, 0, v10, vcc
	v_add_co_u32_e32 v1, vcc, v1, v7
	v_addc_co_u32_e32 v3, vcc, v3, v10, vcc
	v_mad_u64_u32 v[10:11], s[0:1], v8, v3, 0
	v_mul_hi_u32 v7, v8, v1
	v_mad_u64_u32 v[12:13], s[0:1], v9, v3, 0
	v_add_co_u32_e32 v7, vcc, v7, v10
	v_addc_co_u32_e32 v14, vcc, 0, v11, vcc
	v_mad_u64_u32 v[10:11], s[0:1], v9, v1, 0
	v_add_co_u32_e32 v1, vcc, v7, v10
	v_addc_co_u32_e32 v1, vcc, v14, v11, vcc
	v_addc_co_u32_e32 v3, vcc, 0, v13, vcc
	v_add_co_u32_e32 v1, vcc, v1, v12
	v_addc_co_u32_e32 v3, vcc, 0, v3, vcc
	v_mul_lo_u32 v7, s21, v1
	v_mul_lo_u32 v12, s20, v3
	v_mad_u64_u32 v[10:11], s[0:1], s20, v1, 0
	v_add3_u32 v7, v11, v12, v7
	v_sub_u32_e32 v11, v9, v7
	v_mov_b32_e32 v12, s21
	v_sub_co_u32_e32 v10, vcc, v8, v10
	v_subb_co_u32_e64 v11, s[0:1], v11, v12, vcc
	v_subrev_co_u32_e64 v12, s[0:1], s20, v10
	v_subbrev_co_u32_e64 v11, s[0:1], 0, v11, s[0:1]
	v_cmp_le_u32_e64 s[0:1], s21, v11
	v_cndmask_b32_e64 v13, 0, -1, s[0:1]
	v_cmp_le_u32_e64 s[0:1], s20, v12
	v_cndmask_b32_e64 v12, 0, -1, s[0:1]
	v_cmp_eq_u32_e64 s[0:1], s21, v11
	v_cndmask_b32_e64 v11, v13, v12, s[0:1]
	v_add_co_u32_e64 v12, s[0:1], 2, v1
	v_addc_co_u32_e64 v13, s[0:1], 0, v3, s[0:1]
	v_add_co_u32_e64 v14, s[0:1], 1, v1
	v_addc_co_u32_e64 v15, s[0:1], 0, v3, s[0:1]
	v_subb_co_u32_e32 v7, vcc, v9, v7, vcc
	v_cmp_ne_u32_e64 s[0:1], 0, v11
	v_cmp_le_u32_e32 vcc, s21, v7
	v_cndmask_b32_e64 v11, v15, v13, s[0:1]
	v_cndmask_b32_e64 v13, 0, -1, vcc
	v_cmp_le_u32_e32 vcc, s20, v10
	v_cndmask_b32_e64 v10, 0, -1, vcc
	v_cmp_eq_u32_e32 vcc, s21, v7
	v_cndmask_b32_e32 v7, v13, v10, vcc
	v_cmp_ne_u32_e32 vcc, 0, v7
	v_cndmask_b32_e32 v11, v3, v11, vcc
	v_cndmask_b32_e64 v3, v14, v12, s[0:1]
	v_cndmask_b32_e32 v10, v1, v3, vcc
.LBB0_4:                                ;   in Loop: Header=BB0_2 Depth=1
	s_andn2_saveexec_b64 s[0:1], s[22:23]
	s_cbranch_execz .LBB0_6
; %bb.5:                                ;   in Loop: Header=BB0_2 Depth=1
	v_cvt_f32_u32_e32 v1, s20
	s_sub_i32 s22, 0, s20
	v_mov_b32_e32 v11, v6
	v_rcp_iflag_f32_e32 v1, v1
	v_mul_f32_e32 v1, 0x4f7ffffe, v1
	v_cvt_u32_f32_e32 v1, v1
	v_mul_lo_u32 v3, s22, v1
	v_mul_hi_u32 v3, v1, v3
	v_add_u32_e32 v1, v1, v3
	v_mul_hi_u32 v1, v8, v1
	v_mul_lo_u32 v3, v1, s20
	v_add_u32_e32 v7, 1, v1
	v_sub_u32_e32 v3, v8, v3
	v_subrev_u32_e32 v10, s20, v3
	v_cmp_le_u32_e32 vcc, s20, v3
	v_cndmask_b32_e32 v3, v3, v10, vcc
	v_cndmask_b32_e32 v1, v1, v7, vcc
	v_add_u32_e32 v7, 1, v1
	v_cmp_le_u32_e32 vcc, s20, v3
	v_cndmask_b32_e32 v10, v1, v7, vcc
.LBB0_6:                                ;   in Loop: Header=BB0_2 Depth=1
	s_or_b64 exec, exec, s[0:1]
	v_mul_lo_u32 v1, v11, s20
	v_mul_lo_u32 v3, v10, s21
	v_mad_u64_u32 v[12:13], s[0:1], v10, s20, 0
	s_load_dwordx2 s[0:1], s[6:7], 0x0
	s_add_u32 s16, s16, 1
	v_add3_u32 v1, v13, v3, v1
	v_sub_co_u32_e32 v3, vcc, v8, v12
	v_subb_co_u32_e32 v1, vcc, v9, v1, vcc
	s_waitcnt lgkmcnt(0)
	v_mul_lo_u32 v1, s0, v1
	v_mul_lo_u32 v7, s1, v3
	v_mad_u64_u32 v[4:5], s[0:1], s0, v3, v[4:5]
	s_addc_u32 s17, s17, 0
	s_add_u32 s6, s6, 8
	v_add3_u32 v5, v7, v5, v1
	v_mov_b32_e32 v7, s10
	v_mov_b32_e32 v8, s11
	s_addc_u32 s7, s7, 0
	v_cmp_ge_u64_e32 vcc, s[16:17], v[7:8]
	s_add_u32 s18, s18, 8
	s_addc_u32 s19, s19, 0
	s_cbranch_vccnz .LBB0_8
; %bb.7:                                ;   in Loop: Header=BB0_2 Depth=1
	v_mov_b32_e32 v8, v10
	v_mov_b32_e32 v9, v11
	s_branch .LBB0_2
.LBB0_8:
	s_lshl_b64 s[0:1], s[10:11], 3
	s_add_u32 s0, s2, s0
	s_addc_u32 s1, s3, s1
	s_load_dwordx2 s[2:3], s[0:1], 0x0
	s_load_dwordx2 s[6:7], s[4:5], 0x20
                                        ; implicit-def: $sgpr4
                                        ; implicit-def: $vgpr7
                                        ; implicit-def: $vgpr9
                                        ; implicit-def: $vgpr13
                                        ; implicit-def: $vgpr14
	s_waitcnt lgkmcnt(0)
	v_mad_u64_u32 v[3:4], s[0:1], s2, v10, v[4:5]
	s_mov_b32 s0, 0x3c3c3c4
	v_mul_lo_u32 v1, s2, v11
	v_mul_lo_u32 v6, s3, v10
	v_mul_hi_u32 v5, v0, s0
	v_cmp_gt_u64_e32 vcc, s[6:7], v[10:11]
	v_cmp_le_u64_e64 s[0:1], s[6:7], v[10:11]
	v_add3_u32 v4, v6, v4, v1
	v_mul_u32_u24_e32 v1, 0x44, v5
	v_sub_u32_e32 v8, v0, v1
                                        ; implicit-def: $vgpr11
                                        ; implicit-def: $vgpr10
	s_and_saveexec_b64 s[2:3], s[0:1]
	s_xor_b64 s[0:1], exec, s[2:3]
; %bb.9:
	v_add_u32_e32 v11, 0x44, v8
	v_add_u32_e32 v7, 0x88, v8
	v_add_u32_e32 v9, 0xcc, v8
	v_add_u32_e32 v10, 0x110, v8
	v_add_u32_e32 v13, 0x154, v8
	v_add_u32_e32 v14, 0x198, v8
	s_mov_b32 s4, 0
; %bb.10:
	s_or_saveexec_b64 s[2:3], s[0:1]
	v_lshlrev_b64 v[0:1], 2, v[3:4]
	v_mov_b32_e32 v25, s4
	v_mov_b32_e32 v33, s4
                                        ; implicit-def: $vgpr23
                                        ; implicit-def: $vgpr3
                                        ; implicit-def: $vgpr34
                                        ; implicit-def: $vgpr6
                                        ; implicit-def: $vgpr35
                                        ; implicit-def: $vgpr4
                                        ; implicit-def: $vgpr36
                                        ; implicit-def: $vgpr15
                                        ; implicit-def: $vgpr38
                                        ; implicit-def: $vgpr5
                                        ; implicit-def: $vgpr39
                                        ; implicit-def: $vgpr12
                                        ; implicit-def: $vgpr40
                                        ; implicit-def: $vgpr20
                                        ; implicit-def: $vgpr41
                                        ; implicit-def: $vgpr19
                                        ; implicit-def: $vgpr42
                                        ; implicit-def: $vgpr21
                                        ; implicit-def: $vgpr43
                                        ; implicit-def: $vgpr22
                                        ; implicit-def: $vgpr44
                                        ; implicit-def: $vgpr24
                                        ; implicit-def: $vgpr45
                                        ; implicit-def: $vgpr30
                                        ; implicit-def: $vgpr46
                                        ; implicit-def: $vgpr31
                                        ; implicit-def: $vgpr47
                                        ; implicit-def: $vgpr32
                                        ; implicit-def: $vgpr37
                                        ; implicit-def: $vgpr48
	s_xor_b64 exec, exec, s[2:3]
	s_cbranch_execz .LBB0_14
; %bb.11:
	v_mad_u64_u32 v[3:4], s[0:1], s12, v8, 0
	v_add_u32_e32 v9, 0x1fe, v8
	v_mov_b32_e32 v7, s15
	v_mad_u64_u32 v[4:5], s[0:1], s13, v8, v[4:5]
	v_mad_u64_u32 v[5:6], s[0:1], s12, v9, 0
	v_add_co_u32_e64 v16, s[0:1], s14, v0
	v_add_u32_e32 v11, 0x44, v8
	v_addc_co_u32_e64 v17, s[0:1], v7, v1, s[0:1]
	v_mad_u64_u32 v[6:7], s[0:1], s13, v9, v[6:7]
	v_mad_u64_u32 v[9:10], s[0:1], s12, v11, 0
	v_lshlrev_b64 v[3:4], 2, v[3:4]
	v_add_u32_e32 v7, 0x88, v8
	v_add_co_u32_e64 v13, s[0:1], v16, v3
	v_addc_co_u32_e64 v14, s[0:1], v17, v4, s[0:1]
	v_lshlrev_b64 v[3:4], 2, v[5:6]
	v_mov_b32_e32 v5, v10
	v_mad_u64_u32 v[5:6], s[0:1], s13, v11, v[5:6]
	v_add_u32_e32 v6, 0x242, v8
	v_mad_u64_u32 v[18:19], s[0:1], s12, v6, 0
	v_add_co_u32_e64 v21, s[0:1], v16, v3
	v_mov_b32_e32 v10, v5
	v_mov_b32_e32 v5, v19
	v_addc_co_u32_e64 v22, s[0:1], v17, v4, s[0:1]
	v_lshlrev_b64 v[3:4], 2, v[9:10]
	v_mad_u64_u32 v[5:6], s[0:1], s13, v6, v[5:6]
	v_mad_u64_u32 v[9:10], s[0:1], s12, v7, 0
	v_add_co_u32_e64 v23, s[0:1], v16, v3
	v_mov_b32_e32 v19, v5
	v_mov_b32_e32 v5, v10
	v_addc_co_u32_e64 v24, s[0:1], v17, v4, s[0:1]
	v_mad_u64_u32 v[5:6], s[0:1], s13, v7, v[5:6]
	v_add_u32_e32 v6, 0x286, v8
	v_lshlrev_b64 v[3:4], 2, v[18:19]
	v_mad_u64_u32 v[18:19], s[0:1], s12, v6, 0
	v_add_co_u32_e64 v25, s[0:1], v16, v3
	v_mov_b32_e32 v10, v5
	v_addc_co_u32_e64 v26, s[0:1], v17, v4, s[0:1]
	v_lshlrev_b64 v[3:4], 2, v[9:10]
	v_mov_b32_e32 v5, v19
	v_add_u32_e32 v9, 0xcc, v8
	v_mad_u64_u32 v[5:6], s[0:1], s13, v6, v[5:6]
	v_mad_u64_u32 v[27:28], s[0:1], s12, v9, 0
	v_add_co_u32_e64 v29, s[0:1], v16, v3
	v_mov_b32_e32 v19, v5
	v_mov_b32_e32 v5, v28
	v_addc_co_u32_e64 v30, s[0:1], v17, v4, s[0:1]
	v_mad_u64_u32 v[5:6], s[0:1], s13, v9, v[5:6]
	v_add_u32_e32 v6, 0x2ca, v8
	v_lshlrev_b64 v[3:4], 2, v[18:19]
	v_mad_u64_u32 v[18:19], s[0:1], s12, v6, 0
	v_add_co_u32_e64 v31, s[0:1], v16, v3
	v_mov_b32_e32 v28, v5
	v_mov_b32_e32 v5, v19
	v_addc_co_u32_e64 v32, s[0:1], v17, v4, s[0:1]
	v_lshlrev_b64 v[3:4], 2, v[27:28]
	v_mad_u64_u32 v[5:6], s[0:1], s13, v6, v[5:6]
	v_add_co_u32_e64 v27, s[0:1], v16, v3
	v_add_u32_e32 v10, 0x110, v8
	v_addc_co_u32_e64 v28, s[0:1], v17, v4, s[0:1]
	v_mad_u64_u32 v[33:34], s[0:1], s12, v10, 0
	v_mov_b32_e32 v19, v5
	v_lshlrev_b64 v[3:4], 2, v[18:19]
	v_add_u32_e32 v39, 0x30e, v8
	v_add_co_u32_e64 v35, s[0:1], v16, v3
	v_mov_b32_e32 v3, v34
	v_addc_co_u32_e64 v36, s[0:1], v17, v4, s[0:1]
	v_mad_u64_u32 v[18:19], s[0:1], s13, v10, v[3:4]
	global_load_dword v3, v[13:14], off
	global_load_dword v6, v[21:22], off
	;; [unrolled: 1-line block ×8, first 2 shown]
	v_mad_u64_u32 v[37:38], s[0:1], s12, v39, 0
	v_mov_b32_e32 v34, v18
	v_lshlrev_b64 v[21:22], 2, v[33:34]
	v_mov_b32_e32 v13, v38
	v_mad_u64_u32 v[23:24], s[0:1], s13, v39, v[13:14]
	v_add_u32_e32 v13, 0x154, v8
	v_mad_u64_u32 v[24:25], s[0:1], s12, v13, 0
	v_add_co_u32_e64 v26, s[0:1], v16, v21
	v_mov_b32_e32 v14, v25
	v_addc_co_u32_e64 v27, s[0:1], v17, v22, s[0:1]
	v_add_u32_e32 v18, 0x352, v8
	v_mov_b32_e32 v38, v23
	v_lshlrev_b64 v[21:22], 2, v[37:38]
                                        ; implicit-def: $vgpr48
	s_waitcnt vmcnt(4)
	v_mad_u64_u32 v[28:29], s[0:1], s13, v13, v[14:15]
	v_mad_u64_u32 v[29:30], s[0:1], s12, v18, 0
	v_add_co_u32_e64 v33, s[0:1], v16, v21
	v_mov_b32_e32 v25, v28
	v_mov_b32_e32 v14, v30
	v_addc_co_u32_e64 v34, s[0:1], v17, v22, s[0:1]
	v_lshlrev_b64 v[21:22], 2, v[24:25]
	v_mad_u64_u32 v[23:24], s[0:1], s13, v18, v[14:15]
	v_add_u32_e32 v14, 0x198, v8
	v_mad_u64_u32 v[24:25], s[0:1], s12, v14, 0
	v_add_co_u32_e64 v35, s[0:1], v16, v21
	v_mov_b32_e32 v30, v23
	v_mov_b32_e32 v18, v25
	v_addc_co_u32_e64 v36, s[0:1], v17, v22, s[0:1]
	v_lshlrev_b64 v[21:22], 2, v[29:30]
	s_waitcnt vmcnt(0)
	v_mad_u64_u32 v[28:29], s[0:1], s13, v14, v[18:19]
	v_add_u32_e32 v23, 0x396, v8
	v_mad_u64_u32 v[29:30], s[0:1], s12, v23, 0
	v_add_co_u32_e64 v37, s[0:1], v16, v21
	v_mov_b32_e32 v25, v28
	v_mov_b32_e32 v18, v30
	v_addc_co_u32_e64 v38, s[0:1], v17, v22, s[0:1]
	v_lshlrev_b64 v[21:22], 2, v[24:25]
	v_mad_u64_u32 v[23:24], s[0:1], s13, v23, v[18:19]
	v_add_co_u32_e64 v39, s[0:1], v16, v21
	v_mov_b32_e32 v30, v23
	v_addc_co_u32_e64 v40, s[0:1], v17, v22, s[0:1]
	v_lshlrev_b64 v[21:22], 2, v[29:30]
	v_mov_b32_e32 v25, 0
	v_add_co_u32_e64 v28, s[0:1], v16, v21
	v_addc_co_u32_e64 v29, s[0:1], v17, v22, s[0:1]
	global_load_dword v21, v[26:27], off
	global_load_dword v22, v[33:34], off
	;; [unrolled: 1-line block ×6, first 2 shown]
	v_cmp_gt_u32_e64 s[0:1], 34, v8
	v_mov_b32_e32 v33, 0
                                        ; implicit-def: $vgpr37
	s_and_saveexec_b64 s[4:5], s[0:1]
	s_cbranch_execz .LBB0_13
; %bb.12:
	v_add_u32_e32 v23, 0x1dc, v8
	v_mad_u64_u32 v[25:26], s[0:1], s12, v23, 0
	v_add_u32_e32 v29, 0x3da, v8
	v_mad_u64_u32 v[27:28], s[0:1], s12, v29, 0
	v_mov_b32_e32 v18, v26
	v_mad_u64_u32 v[33:34], s[0:1], s13, v23, v[18:19]
	v_mov_b32_e32 v18, v28
	;; [unrolled: 2-line block ×3, first 2 shown]
	v_lshlrev_b64 v[25:26], 2, v[25:26]
	v_lshlrev_b64 v[27:28], 2, v[27:28]
	v_add_co_u32_e64 v25, s[0:1], v16, v25
	v_addc_co_u32_e64 v26, s[0:1], v17, v26, s[0:1]
	v_add_co_u32_e64 v16, s[0:1], v16, v27
	v_addc_co_u32_e64 v17, s[0:1], v17, v28, s[0:1]
	global_load_dword v33, v[25:26], off
	global_load_dword v48, v[16:17], off
	s_waitcnt vmcnt(1)
	v_lshrrev_b32_e32 v25, 16, v33
	s_waitcnt vmcnt(0)
	v_lshrrev_b32_e32 v37, 16, v48
.LBB0_13:
	s_or_b64 exec, exec, s[4:5]
	v_lshrrev_b32_e32 v23, 16, v3
	v_lshrrev_b32_e32 v34, 16, v6
	;; [unrolled: 1-line block ×8, first 2 shown]
	s_waitcnt vmcnt(5)
	v_lshrrev_b32_e32 v42, 16, v21
	s_waitcnt vmcnt(4)
	v_lshrrev_b32_e32 v43, 16, v22
	;; [unrolled: 2-line block ×6, first 2 shown]
.LBB0_14:
	s_or_b64 exec, exec, s[2:3]
	s_mov_b32 s0, 0xaaaaaaab
	v_mul_hi_u32 v18, v2, s0
	v_sub_f16_e32 v16, v3, v6
	v_sub_f16_e32 v17, v4, v15
	v_fma_f16 v15, v3, 2.0, -v16
	v_lshrrev_b32_e32 v3, 1, v18
	v_lshl_add_u32 v3, v3, 1, v3
	v_sub_u32_e32 v2, v2, v3
	v_mul_u32_u24_e32 v3, 0x3fc, v2
	v_sub_f16_e32 v18, v5, v12
	v_lshlrev_b32_e32 v2, 2, v8
	v_lshlrev_b32_e32 v12, 1, v3
	v_fma_f16 v26, v4, 2.0, -v17
	v_fma_f16 v27, v5, 2.0, -v18
	v_add3_u32 v56, 0, v2, v12
	v_pack_b32_f16 v3, v15, v16
	v_lshlrev_b32_e32 v5, 2, v11
	ds_write_b32 v56, v3
	v_add3_u32 v57, 0, v5, v12
	v_pack_b32_f16 v3, v26, v17
	v_lshlrev_b32_e32 v6, 2, v7
	v_sub_f16_e32 v19, v20, v19
	ds_write_b32 v57, v3
	v_add3_u32 v58, 0, v6, v12
	v_pack_b32_f16 v3, v27, v18
	v_fma_f16 v28, v20, 2.0, -v19
	ds_write_b32 v58, v3
	v_lshlrev_b32_e32 v3, 2, v9
	v_sub_f16_e32 v20, v21, v22
	v_add3_u32 v59, 0, v3, v12
	v_pack_b32_f16 v3, v28, v19
	v_fma_f16 v29, v21, 2.0, -v20
	ds_write_b32 v59, v3
	v_lshlrev_b32_e32 v3, 2, v10
	v_sub_f16_e32 v21, v24, v30
	;; [unrolled: 6-line block ×3, first 2 shown]
	v_add3_u32 v61, 0, v3, v12
	v_pack_b32_f16 v3, v30, v21
	v_fma_f16 v31, v31, 2.0, -v22
	v_sub_f16_e32 v24, v33, v48
	ds_write_b32 v61, v3
	v_lshlrev_b32_e32 v3, 2, v14
	v_add_u32_e32 v4, 0x1dc, v8
	v_fma_f16 v32, v33, 2.0, -v24
	v_add3_u32 v63, 0, v3, v12
	v_pack_b32_f16 v3, v31, v22
	v_cmp_gt_u32_e64 s[0:1], 34, v8
	v_lshlrev_b32_e32 v62, 2, v4
	ds_write_b32 v63, v3
	s_and_saveexec_b64 s[2:3], s[0:1]
	s_cbranch_execz .LBB0_16
; %bb.15:
	s_mov_b32 s4, 0x5040100
	v_add3_u32 v3, 0, v62, v12
	v_perm_b32 v33, v24, v32, s4
	ds_write_b32 v3, v33
.LBB0_16:
	s_or_b64 exec, exec, s[2:3]
	v_cmp_gt_u32_e64 s[2:3], 60, v8
	v_lshlrev_b32_e32 v3, 1, v8
	s_waitcnt lgkmcnt(0)
	s_barrier
	s_waitcnt lgkmcnt(0)
                                        ; implicit-def: $vgpr33
	s_and_saveexec_b64 s[4:5], s[2:3]
	s_cbranch_execz .LBB0_18
; %bb.17:
	v_add3_u32 v15, 0, v12, v3
	v_add3_u32 v33, 0, v3, v12
	ds_read_u16 v15, v15
	ds_read_u16 v16, v33 offset:120
	ds_read_u16 v26, v33 offset:240
	;; [unrolled: 1-line block ×16, first 2 shown]
.LBB0_18:
	s_or_b64 exec, exec, s[4:5]
	v_sub_f16_e32 v50, v23, v34
	v_fma_f16 v23, v23, 2.0, -v50
	v_sub_f16_e32 v49, v35, v36
	v_sub_f16_e32 v37, v25, v37
	v_fma_f16 v54, v35, 2.0, -v49
	v_sub_f16_e32 v48, v38, v39
	v_fma_f16 v55, v25, 2.0, -v37
	v_pack_b32_f16 v25, v23, v50
	v_fma_f16 v52, v38, 2.0, -v48
	v_sub_f16_e32 v35, v40, v41
	s_waitcnt lgkmcnt(0)
	s_barrier
	ds_write_b32 v56, v25
	v_pack_b32_f16 v25, v54, v49
	v_fma_f16 v51, v40, 2.0, -v35
	v_sub_f16_e32 v36, v42, v43
	ds_write_b32 v57, v25
	v_pack_b32_f16 v25, v52, v48
	v_fma_f16 v40, v42, 2.0, -v36
	v_sub_f16_e32 v38, v44, v45
	;; [unrolled: 4-line block ×3, first 2 shown]
	ds_write_b32 v59, v25
	v_pack_b32_f16 v25, v40, v36
	v_fma_f16 v53, v46, 2.0, -v39
	ds_write_b32 v60, v25
	v_pack_b32_f16 v25, v41, v38
	ds_write_b32 v61, v25
	v_pack_b32_f16 v25, v53, v39
	ds_write_b32 v63, v25
	s_and_saveexec_b64 s[4:5], s[0:1]
	s_cbranch_execz .LBB0_20
; %bb.19:
	s_mov_b32 s6, 0x5040100
	v_add3_u32 v25, 0, v62, v12
	v_perm_b32 v34, v37, v55, s6
	ds_write_b32 v25, v34
.LBB0_20:
	s_or_b64 exec, exec, s[4:5]
	s_waitcnt lgkmcnt(0)
	s_barrier
	s_waitcnt lgkmcnt(0)
                                        ; implicit-def: $vgpr57
	s_and_saveexec_b64 s[4:5], s[2:3]
	s_cbranch_execz .LBB0_22
; %bb.21:
	v_add3_u32 v23, 0, v12, v3
	v_add3_u32 v25, 0, v3, v12
	ds_read_u16 v23, v23
	ds_read_u16 v50, v25 offset:120
	ds_read_u16 v54, v25 offset:240
	ds_read_u16 v49, v25 offset:360
	ds_read_u16 v52, v25 offset:480
	ds_read_u16 v48, v25 offset:600
	ds_read_u16 v51, v25 offset:720
	ds_read_u16 v35, v25 offset:840
	ds_read_u16 v40, v25 offset:960
	ds_read_u16 v36, v25 offset:1080
	ds_read_u16 v41, v25 offset:1200
	ds_read_u16 v38, v25 offset:1320
	ds_read_u16 v53, v25 offset:1440
	ds_read_u16 v39, v25 offset:1560
	ds_read_u16 v55, v25 offset:1680
	ds_read_u16 v37, v25 offset:1800
	ds_read_u16 v57, v25 offset:1920
.LBB0_22:
	s_or_b64 exec, exec, s[4:5]
	v_and_b32_e32 v25, 1, v8
	v_lshlrev_b32_e32 v34, 6, v25
	global_load_dwordx4 v[42:45], v34, s[8:9]
	global_load_dwordx4 v[62:65], v34, s[8:9] offset:16
	global_load_dwordx4 v[66:69], v34, s[8:9] offset:32
	global_load_dwordx4 v[70:73], v34, s[8:9] offset:48
	s_mov_b32 s4, 0xb964bb29
	s_mov_b32 s6, 0x39e93722
	;; [unrolled: 1-line block ×9, first 2 shown]
	s_waitcnt vmcnt(0) lgkmcnt(0)
	s_barrier
	v_mul_f16_sdwa v34, v50, v42 dst_sel:DWORD dst_unused:UNUSED_PAD src0_sel:DWORD src1_sel:WORD_1
	v_mul_f16_sdwa v46, v16, v42 dst_sel:DWORD dst_unused:UNUSED_PAD src0_sel:DWORD src1_sel:WORD_1
	;; [unrolled: 1-line block ×32, first 2 shown]
	v_fma_f16 v34, v16, v42, -v34
	v_fma_f16 v42, v50, v42, v46
	v_fma_f16 v57, v57, v73, v98
	v_fma_f16 v58, v26, v43, -v47
	v_fma_f16 v43, v54, v43, v56
	v_fma_f16 v59, v17, v44, -v59
	;; [unrolled: 2-line block ×15, first 2 shown]
	v_sub_f16_e32 v36, v42, v57
	v_add_f16_e32 v16, v34, v72
	v_sub_f16_e32 v35, v43, v56
	v_pk_mul_f16 v37, v36, s4 op_sel_hi:[0,1]
	s_mov_b32 s4, 0xbbf7ba62
	v_add_f16_e32 v17, v58, v71
	v_sub_f16_e32 v33, v44, v55
	v_pk_fma_f16 v24, v16, s6, v37 op_sel_hi:[0,1,1]
	v_pk_mul_f16 v38, v35, s4 op_sel_hi:[0,1]
	s_mov_b32 s4, 0xba6231e1
	v_add_f16_e32 v18, v59, v70
	v_sub_f16_e32 v32, v45, v54
	v_pk_add_f16 v24, v15, v24 op_sel_hi:[0,1]
	v_pk_fma_f16 v26, v17, s7, v38 op_sel_hi:[0,1,1]
	v_pk_mul_f16 v39, v33, s4 op_sel_hi:[0,1]
	s_mov_b32 s4, 0xb1e13bb2
	v_add_f16_e32 v19, v60, v69
	v_sub_f16_e32 v31, v46, v53
	v_pk_add_f16 v24, v26, v24
	v_pk_fma_f16 v26, v18, s10, v39 op_sel_hi:[0,1,1]
	v_pk_mul_f16 v40, v32, s4 op_sel_hi:[0,1]
	s_mov_b32 s4, 0x38363964
	v_add_f16_e32 v20, v61, v68
	v_sub_f16_e32 v30, v47, v52
	v_pk_add_f16 v24, v26, v24
	;; [unrolled: 6-line block ×4, first 2 shown]
	v_pk_fma_f16 v26, v21, s17, v73 op_sel_hi:[0,1,1]
	v_pk_mul_f16 v74, v29, s4 op_sel_hi:[0,1]
	s_mov_b32 s4, 0x35c8b836
	v_add_f16_e32 v27, v64, v65
	v_pk_add_f16 v24, v26, v24
	v_pk_fma_f16 v26, v22, s18, v74 op_sel_hi:[0,1,1]
	v_pk_mul_f16 v75, v28, s4 op_sel_hi:[0,1]
	v_pk_add_f16 v24, v26, v24
	v_pk_fma_f16 v26, v27, s19, v75 op_sel_hi:[0,1,1]
	v_pk_add_f16 v24, v26, v24
	v_lshrrev_b32_e32 v26, 1, v8
	s_and_saveexec_b64 s[4:5], s[2:3]
	s_cbranch_execz .LBB0_24
; %bb.23:
	v_pk_mul_f16 v76, v16, s6 op_sel_hi:[0,1]
	v_mul_f16_e32 v85, 0xb1e1, v36
	s_mov_b32 s6, 0xbbdd
	v_pk_mul_f16 v78, v18, s10 op_sel_hi:[0,1]
	v_fma_f16 v86, v16, s6, v85
	v_mul_f16_e32 v87, 0x35c8, v35
	s_movk_i32 s10, 0x3b76
	v_add_f16_e32 v86, v15, v86
	v_fma_f16 v88, v17, s10, v87
	v_pk_mul_f16 v77, v17, s7 op_sel_hi:[0,1]
	v_add_f16_e32 v86, v88, v86
	v_mul_f16_e32 v88, 0xb836, v33
	s_mov_b32 s7, 0xbacd
	v_fma_f16 v89, v18, s7, v88
	v_pk_mul_f16 v80, v20, s16 op_sel_hi:[0,1]
	v_add_f16_e32 v86, v89, v86
	v_mul_f16_e32 v89, 0x3964, v32
	s_movk_i32 s16, 0x39e9
	v_fma_f16 v90, v19, s16, v89
	v_pk_mul_f16 v79, v19, s11 op_sel_hi:[0,1]
	v_add_f16_e32 v86, v90, v86
	v_mul_f16_e32 v90, 0xba62, v31
	s_mov_b32 s11, 0xb8d2
	v_fma_f16 v85, v16, s6, -v85
	v_fma_f16 v91, v20, s11, v90
	v_add_f16_e32 v85, v15, v85
	v_fma_f16 v87, v17, s10, -v87
	v_pk_mul_f16 v81, v21, s17 op_sel_hi:[0,1]
	v_add_f16_e32 v86, v91, v86
	v_mul_f16_e32 v91, 0x3b29, v30
	s_movk_i32 s17, 0x3722
	v_add_f16_e32 v85, v87, v85
	v_fma_f16 v87, v18, s7, -v88
	v_fma_f16 v92, v21, s17, v91
	v_add_f16_e32 v85, v87, v85
	v_fma_f16 v87, v19, s16, -v89
	v_pk_mul_f16 v82, v22, s18 op_sel_hi:[0,1]
	v_add_f16_e32 v86, v92, v86
	v_mul_f16_e32 v92, 0xbbb2, v29
	s_mov_b32 s18, 0xb461
	v_add_f16_e32 v85, v87, v85
	v_fma_f16 v87, v20, s11, -v90
	v_fma_f16 v93, v22, s18, v92
	v_add_f16_e32 v85, v87, v85
	v_fma_f16 v87, v21, s17, -v91
	v_pk_mul_f16 v83, v27, s19 op_sel_hi:[0,1]
	v_add_f16_e32 v86, v93, v86
	v_mul_f16_e32 v93, 0x3bf7, v28
	s_movk_i32 s19, 0x2de8
	v_add_f16_e32 v85, v87, v85
	v_fma_f16 v87, v22, s18, -v92
	v_add_f16_e32 v85, v87, v85
	v_fma_f16 v87, v27, s19, -v93
	v_add_f16_e32 v85, v87, v85
	v_mul_f16_e32 v87, 0xb836, v36
	v_fma_f16 v88, v16, s7, v87
	v_mul_f16_e32 v89, 0x3b29, v35
	v_add_f16_e32 v88, v15, v88
	v_fma_f16 v90, v17, s17, v89
	v_add_f16_e32 v88, v90, v88
	v_mul_f16_e32 v90, 0xbbf7, v33
	v_fma_f16 v91, v18, s19, v90
	v_add_f16_e32 v88, v91, v88
	v_mul_f16_e32 v91, 0x3a62, v32
	v_fma_f16 v92, v19, s11, v91
	v_add_f16_e32 v88, v92, v88
	v_mul_f16_e32 v92, 0xb5c8, v31
	v_fma_f16 v87, v16, s7, -v87
	v_fma_f16 v94, v27, s19, v93
	v_fma_f16 v93, v20, s10, v92
	v_add_f16_e32 v87, v15, v87
	v_fma_f16 v89, v17, s17, -v89
	v_add_f16_e32 v88, v93, v88
	v_mul_f16_e32 v93, 0xb1e1, v30
	v_add_f16_e32 v87, v89, v87
	v_fma_f16 v89, v18, s19, -v90
	v_add_f16_e32 v86, v94, v86
	v_fma_f16 v94, v21, s6, v93
	v_add_f16_e32 v87, v89, v87
	v_fma_f16 v89, v19, s11, -v91
	v_add_f16_e32 v88, v94, v88
	v_mul_f16_e32 v94, 0x3964, v29
	v_add_f16_e32 v87, v89, v87
	v_fma_f16 v89, v20, s10, -v92
	v_fma_f16 v95, v22, s16, v94
	v_add_f16_e32 v87, v89, v87
	v_fma_f16 v89, v21, s6, -v93
	v_add_f16_e32 v88, v95, v88
	v_mul_f16_e32 v95, 0xbbb2, v28
	v_add_f16_e32 v87, v89, v87
	v_fma_f16 v89, v22, s16, -v94
	v_add_f16_e32 v87, v89, v87
	v_fma_f16 v89, v27, s18, -v95
	v_add_f16_e32 v87, v89, v87
	v_mul_f16_e32 v89, 0xba62, v36
	v_fma_f16 v90, v16, s11, v89
	v_mul_f16_e32 v91, 0x3bb2, v35
	v_add_f16_e32 v90, v15, v90
	v_fma_f16 v92, v17, s18, v91
	v_add_f16_e32 v90, v92, v90
	v_mul_f16_e32 v92, 0xb5c8, v33
	v_fma_f16 v93, v18, s10, v92
	v_add_f16_e32 v90, v93, v90
	v_mul_f16_e32 v93, 0xb836, v32
	v_fma_f16 v94, v19, s7, v93
	v_add_f16_e32 v90, v94, v90
	v_mul_f16_e32 v94, 0x3bf7, v31
	v_fma_f16 v89, v16, s11, -v89
	v_fma_f16 v96, v27, s18, v95
	v_fma_f16 v95, v20, s19, v94
	v_add_f16_e32 v89, v15, v89
	v_fma_f16 v91, v17, s18, -v91
	v_add_f16_e32 v90, v95, v90
	v_mul_f16_e32 v95, 0xb964, v30
	v_add_f16_e32 v89, v91, v89
	v_fma_f16 v91, v18, s10, -v92
	v_add_f16_e32 v88, v96, v88
	v_fma_f16 v96, v21, s16, v95
	v_add_f16_e32 v89, v91, v89
	v_fma_f16 v91, v19, s7, -v93
	v_add_f16_e32 v90, v96, v90
	v_mul_f16_e32 v96, 0xb1e1, v29
	v_add_f16_e32 v89, v91, v89
	v_fma_f16 v91, v20, s19, -v94
	v_fma_f16 v97, v22, s6, v96
	v_add_f16_e32 v89, v91, v89
	v_fma_f16 v91, v21, s16, -v95
	v_add_f16_e32 v90, v97, v90
	v_mul_f16_e32 v97, 0x3b29, v28
	;; [unrolled: 40-line block ×3, first 2 shown]
	v_add_f16_e32 v91, v93, v91
	v_fma_f16 v93, v22, s10, -v98
	v_add_f16_e32 v91, v93, v91
	v_fma_f16 v93, v27, s11, -v99
	v_add_f16_e32 v91, v93, v91
	v_mul_f16_e32 v93, 0xbbf7, v36
	v_fma_f16 v94, v16, s19, v93
	v_mul_f16_e32 v95, 0xb1e1, v35
	v_add_f16_e32 v94, v15, v94
	v_fma_f16 v96, v17, s6, v95
	v_add_f16_e32 v84, v15, v34
	v_add_f16_e32 v94, v96, v94
	v_mul_f16_e32 v96, 0x3bb2, v33
	v_add_f16_e32 v84, v84, v58
	v_fma_f16 v97, v18, s18, v96
	v_add_f16_e32 v84, v84, v59
	v_add_f16_e32 v94, v97, v94
	v_mul_f16_e32 v97, 0x35c8, v32
	v_pk_add_f16 v37, v76, v37 neg_lo:[0,1] neg_hi:[0,1]
	v_add_f16_e32 v84, v84, v60
	v_fma_f16 v98, v19, s10, v97
	v_add_f16_e32 v76, v15, v37
	v_pk_add_f16 v38, v77, v38 neg_lo:[0,1] neg_hi:[0,1]
	v_add_f16_sdwa v37, v15, v37 dst_sel:DWORD dst_unused:UNUSED_PAD src0_sel:DWORD src1_sel:WORD_1
	v_mul_f16_e32 v36, 0xb5c8, v36
	v_add_f16_e32 v84, v84, v61
	v_add_f16_e32 v94, v98, v94
	v_mul_f16_e32 v98, 0xbb29, v31
	v_fma_f16 v93, v16, s19, -v93
	v_add_f16_e32 v76, v38, v76
	v_add_f16_sdwa v37, v38, v37 dst_sel:DWORD dst_unused:UNUSED_PAD src0_sel:WORD_1 src1_sel:DWORD
	v_fma_f16 v38, v16, s10, v36
	v_mul_f16_e32 v35, 0xb964, v35
	v_fma_f16 v16, v16, s10, -v36
	v_add_f16_e32 v84, v84, v62
	v_fma_f16 v100, v27, s11, v99
	v_fma_f16 v99, v20, s17, v98
	v_add_f16_e32 v93, v15, v93
	v_add_f16_e32 v38, v15, v38
	v_mul_f16_e32 v33, 0xbb29, v33
	v_add_f16_e32 v15, v15, v16
	v_fma_f16 v16, v17, s16, -v35
	v_add_f16_e32 v84, v84, v63
	v_add_f16_e32 v94, v99, v94
	v_mul_f16_e32 v99, 0xb836, v30
	v_mul_f16_e32 v32, 0xbbf7, v32
	v_add_f16_e32 v15, v16, v15
	v_fma_f16 v16, v18, s17, -v33
	v_add_f16_e32 v84, v84, v64
	v_add_f16_e32 v92, v100, v92
	v_fma_f16 v100, v21, s7, v99
	v_mul_f16_e32 v31, 0xbbb2, v31
	v_add_f16_e32 v15, v16, v15
	v_fma_f16 v16, v19, s19, -v32
	v_add_f16_e32 v84, v84, v65
	v_add_f16_e32 v94, v100, v94
	v_mul_f16_e32 v100, 0x3a62, v29
	v_pk_add_f16 v39, v78, v39 neg_lo:[0,1] neg_hi:[0,1]
	v_mul_f16_e32 v30, 0xba62, v30
	v_add_f16_e32 v15, v16, v15
	v_fma_f16 v16, v20, s18, -v31
	v_add_f16_e32 v84, v84, v66
	v_fma_f16 v101, v22, s11, v100
	v_fma_f16 v95, v17, s6, -v95
	v_add_f16_e32 v76, v39, v76
	v_add_f16_sdwa v37, v39, v37 dst_sel:DWORD dst_unused:UNUSED_PAD src0_sel:WORD_1 src1_sel:DWORD
	v_fma_f16 v39, v17, s16, v35
	v_mul_f16_e32 v29, 0xb836, v29
	v_add_f16_e32 v15, v16, v15
	v_fma_f16 v16, v21, s11, -v30
	v_add_f16_e32 v84, v84, v67
	v_add_f16_e32 v94, v101, v94
	v_mul_f16_e32 v101, 0x3964, v28
	v_add_f16_e32 v93, v95, v93
	v_fma_f16 v95, v18, s18, -v96
	v_add_f16_e32 v38, v39, v38
	v_fma_f16 v39, v18, s17, v33
	v_mul_f16_e32 v28, 0xb1e1, v28
	v_add_f16_e32 v15, v16, v15
	v_fma_f16 v16, v22, s7, -v29
	v_add_f16_e32 v84, v84, v68
	v_add_f16_e32 v93, v95, v93
	v_fma_f16 v95, v19, s10, -v97
	v_pk_add_f16 v40, v79, v40 neg_lo:[0,1] neg_hi:[0,1]
	v_add_f16_e32 v38, v39, v38
	v_fma_f16 v39, v19, s19, v32
	v_add_f16_e32 v15, v16, v15
	v_fma_f16 v16, v27, s6, -v28
	v_add_f16_e32 v84, v84, v69
	v_add_f16_e32 v93, v95, v93
	v_fma_f16 v95, v20, s17, -v98
	v_add_f16_e32 v76, v40, v76
	v_pk_add_f16 v41, v80, v41 neg_lo:[0,1] neg_hi:[0,1]
	v_add_f16_sdwa v37, v40, v37 dst_sel:DWORD dst_unused:UNUSED_PAD src0_sel:WORD_1 src1_sel:DWORD
	v_add_f16_e32 v38, v39, v38
	v_fma_f16 v39, v20, s18, v31
	v_add_f16_e32 v15, v16, v15
	v_mul_u32_u24_e32 v16, 34, v26
	v_add_f16_e32 v84, v84, v70
	v_add_f16_e32 v93, v95, v93
	v_fma_f16 v95, v21, s7, -v99
	v_add_f16_e32 v76, v41, v76
	v_pk_add_f16 v73, v81, v73 neg_lo:[0,1] neg_hi:[0,1]
	v_add_f16_sdwa v37, v41, v37 dst_sel:DWORD dst_unused:UNUSED_PAD src0_sel:WORD_1 src1_sel:DWORD
	v_add_f16_e32 v38, v39, v38
	v_fma_f16 v39, v21, s11, v30
	v_or_b32_e32 v16, v16, v25
	v_add_f16_e32 v84, v84, v71
	v_add_f16_e32 v93, v95, v93
	v_fma_f16 v95, v22, s11, -v100
	v_add_f16_e32 v76, v73, v76
	v_pk_add_f16 v74, v82, v74 neg_lo:[0,1] neg_hi:[0,1]
	v_add_f16_sdwa v37, v73, v37 dst_sel:DWORD dst_unused:UNUSED_PAD src0_sel:WORD_1 src1_sel:DWORD
	v_add_f16_e32 v38, v39, v38
	v_fma_f16 v39, v22, s7, v29
	v_lshlrev_b32_e32 v16, 1, v16
	v_add_f16_e32 v84, v84, v72
	v_fma_f16 v102, v27, s16, v101
	v_add_f16_e32 v93, v95, v93
	v_fma_f16 v95, v27, s16, -v101
	v_add_f16_e32 v76, v74, v76
	v_pk_add_f16 v75, v83, v75 neg_lo:[0,1] neg_hi:[0,1]
	v_add_f16_sdwa v37, v74, v37 dst_sel:DWORD dst_unused:UNUSED_PAD src0_sel:WORD_1 src1_sel:DWORD
	v_add_f16_e32 v38, v39, v38
	v_fma_f16 v39, v27, s6, v28
	v_add3_u32 v16, 0, v16, v12
	v_add_f16_e32 v94, v102, v94
	v_add_f16_e32 v93, v95, v93
	;; [unrolled: 1-line block ×3, first 2 shown]
	v_add_f16_sdwa v37, v75, v37 dst_sel:DWORD dst_unused:UNUSED_PAD src0_sel:WORD_1 src1_sel:DWORD
	v_add_f16_e32 v38, v39, v38
	ds_write_b16 v16, v84
	ds_write_b16 v16, v15 offset:4
	ds_write_b16 v16, v37 offset:8
	ds_write_b16 v16, v76 offset:12
	ds_write_b16 v16, v93 offset:16
	ds_write_b16 v16, v91 offset:20
	ds_write_b16 v16, v89 offset:24
	ds_write_b16 v16, v87 offset:28
	ds_write_b16 v16, v85 offset:32
	ds_write_b16 v16, v86 offset:36
	ds_write_b16 v16, v88 offset:40
	ds_write_b16 v16, v90 offset:44
	ds_write_b16 v16, v92 offset:48
	ds_write_b16 v16, v94 offset:52
	ds_write_b16 v16, v24 offset:56
	ds_write_b16_d16_hi v16, v24 offset:60
	ds_write_b16 v16, v38 offset:64
.LBB0_24:
	s_or_b64 exec, exec, s[4:5]
	v_add_u32_e32 v22, 0, v12
	v_lshl_add_u32 v16, v11, 1, v22
	s_waitcnt lgkmcnt(0)
	s_barrier
	v_add_u32_e32 v15, v22, v3
	v_add3_u32 v17, 0, v3, v12
	v_lshl_add_u32 v18, v7, 1, v22
	v_lshl_add_u32 v19, v9, 1, v22
	;; [unrolled: 1-line block ×5, first 2 shown]
	ds_read_u16 v35, v16
	ds_read_u16 v36, v18
	;; [unrolled: 1-line block ×7, first 2 shown]
	ds_read_u16 v33, v17 offset:1020
	ds_read_u16 v32, v17 offset:1156
	;; [unrolled: 1-line block ×7, first 2 shown]
	s_and_saveexec_b64 s[4:5], s[0:1]
	s_cbranch_execz .LBB0_26
; %bb.25:
	ds_read_u16 v24, v17 offset:952
	ds_read_u16 v73, v17 offset:1972
	s_mov_b32 s6, 0x5040100
	s_waitcnt lgkmcnt(0)
	v_perm_b32 v24, v73, v24, s6
.LBB0_26:
	s_or_b64 exec, exec, s[4:5]
	v_sub_f16_e32 v81, v34, v72
	s_mov_b32 s4, 0xb964bb29
	v_add_f16_e32 v80, v42, v57
	v_sub_f16_e32 v79, v58, v71
	v_sub_f16_e32 v75, v60, v69
	s_mov_b32 s6, 0x39e93722
	v_pk_mul_f16 v60, v81, s4 op_sel_hi:[0,1]
	s_mov_b32 s4, 0xbbf7ba62
	v_add_f16_e32 v78, v43, v56
	v_sub_f16_e32 v71, v62, v67
	v_pk_fma_f16 v34, v80, s6, v60 op_sel_hi:[0,1,1] neg_lo:[0,0,1] neg_hi:[0,0,1]
	s_mov_b32 s7, 0x2de8b8d2
	v_pk_mul_f16 v62, v79, s4 op_sel_hi:[0,1]
	v_sub_f16_e32 v77, v59, v70
	v_sub_f16_e32 v66, v63, v66
	v_pk_add_f16 v34, v23, v34 op_sel_hi:[0,1]
	v_pk_fma_f16 v63, v78, s7, v62 op_sel_hi:[0,1,1] neg_lo:[0,0,1] neg_hi:[0,0,1]
	s_mov_b32 s4, 0xba6231e1
	v_add_f16_e32 v76, v44, v55
	v_pk_add_f16 v34, v63, v34
	s_mov_b32 s10, 0xb8d2bbdd
	v_pk_mul_f16 v63, v77, s4 op_sel_hi:[0,1]
	v_sub_f16_e32 v59, v64, v65
	v_pk_fma_f16 v64, v76, s10, v63 op_sel_hi:[0,1,1] neg_lo:[0,0,1] neg_hi:[0,0,1]
	s_mov_b32 s4, 0xb1e13bb2
	v_add_f16_e32 v74, v45, v54
	v_pk_add_f16 v34, v64, v34
	s_mov_b32 s11, 0xbbddb461
	v_pk_mul_f16 v64, v75, s4 op_sel_hi:[0,1]
	v_sub_f16_e32 v73, v61, v68
	v_pk_fma_f16 v65, v74, s11, v64 op_sel_hi:[0,1,1] neg_lo:[0,0,1] neg_hi:[0,0,1]
	s_mov_b32 s4, 0x38363964
	v_add_f16_e32 v72, v46, v53
	v_pk_add_f16 v34, v65, v34
	s_mov_b32 s16, 0xbacd39e9
	v_pk_mul_f16 v65, v73, s4 op_sel_hi:[0,1]
	v_pk_fma_f16 v67, v72, s16, v65 op_sel_hi:[0,1,1] neg_lo:[0,0,1] neg_hi:[0,0,1]
	s_mov_b32 s4, 0x3bb2b5c8
	v_add_f16_e32 v70, v47, v52
	v_pk_add_f16 v34, v67, v34
	s_mov_b32 s17, 0xb4613b76
	v_pk_mul_f16 v67, v71, s4 op_sel_hi:[0,1]
	;; [unrolled: 6-line block ×4, first 2 shown]
	v_pk_fma_f16 v82, v58, s19, v69 op_sel_hi:[0,1,1] neg_lo:[0,0,1] neg_hi:[0,0,1]
	v_pk_add_f16 v34, v82, v34
	s_waitcnt lgkmcnt(0)
	s_barrier
	s_and_saveexec_b64 s[4:5], s[2:3]
	s_cbranch_execz .LBB0_28
; %bb.27:
	v_add_f16_e32 v42, v23, v42
	v_add_f16_e32 v42, v42, v43
	;; [unrolled: 1-line block ×12, first 2 shown]
	v_pk_mul_f16 v85, v74, s11 op_sel_hi:[0,1]
	v_add_f16_e32 v42, v42, v54
	v_mul_f16_e32 v43, 0xb5c8, v81
	s_movk_i32 s11, 0x3b76
	v_pk_mul_f16 v83, v78, s7 op_sel_hi:[0,1]
	v_add_f16_e32 v42, v42, v55
	v_fma_f16 v44, v80, s11, v43
	v_fma_f16 v43, v80, s11, -v43
	v_mul_f16_e32 v55, 0xb964, v79
	s_movk_i32 s7, 0x39e9
	v_add_f16_e32 v42, v42, v56
	v_add_f16_e32 v43, v23, v43
	v_mul_f16_e32 v45, 0xbbf7, v81
	s_movk_i32 s2, 0x2de8
	v_fma_f16 v56, v78, s7, v55
	v_fma_f16 v55, v78, s7, -v55
	v_pk_mul_f16 v87, v70, s17 op_sel_hi:[0,1]
	v_add_f16_e32 v44, v23, v44
	v_fma_f16 v46, v80, s2, v45
	v_fma_f16 v45, v80, s2, -v45
	s_mov_b32 s17, 0xbbdd
	v_add_f16_e32 v43, v55, v43
	v_mul_f16_e32 v55, 0xb1e1, v79
	v_add_f16_e32 v45, v23, v45
	v_mul_f16_e32 v47, 0xbbb2, v81
	s_mov_b32 s3, 0xb461
	v_add_f16_e32 v44, v56, v44
	v_fma_f16 v56, v78, s17, v55
	v_fma_f16 v55, v78, s17, -v55
	v_pk_mul_f16 v86, v72, s16 op_sel_hi:[0,1]
	v_add_f16_e32 v46, v23, v46
	v_fma_f16 v48, v80, s3, v47
	v_fma_f16 v47, v80, s3, -v47
	s_mov_b32 s16, 0xbacd
	v_add_f16_e32 v45, v55, v45
	v_mul_f16_e32 v55, 0x3836, v79
	v_pk_mul_f16 v82, v80, s6 op_sel_hi:[0,1]
	v_add_f16_e32 v47, v23, v47
	v_mul_f16_e32 v49, 0xba62, v81
	s_mov_b32 s6, 0xb8d2
	v_add_f16_e32 v46, v56, v46
	v_fma_f16 v56, v78, s16, v55
	v_fma_f16 v55, v78, s16, -v55
	v_add_f16_e32 v48, v23, v48
	v_fma_f16 v50, v80, s6, v49
	v_fma_f16 v49, v80, s6, -v49
	v_add_f16_e32 v47, v55, v47
	v_mul_f16_e32 v55, 0x3bb2, v79
	v_add_f16_e32 v49, v23, v49
	v_mul_f16_e32 v51, 0xb836, v81
	v_add_f16_e32 v48, v56, v48
	v_fma_f16 v56, v78, s3, v55
	v_fma_f16 v55, v78, s3, -v55
	v_pk_mul_f16 v84, v76, s10 op_sel_hi:[0,1]
	v_add_f16_e32 v50, v23, v50
	v_fma_f16 v52, v80, s16, v51
	v_fma_f16 v51, v80, s16, -v51
	v_add_f16_e32 v49, v55, v49
	v_mul_f16_e32 v55, 0x3b29, v79
	s_movk_i32 s10, 0x3722
	v_add_f16_e32 v51, v23, v51
	v_mul_f16_e32 v53, 0xb1e1, v81
	v_add_f16_e32 v50, v56, v50
	v_fma_f16 v56, v78, s10, v55
	v_fma_f16 v55, v78, s10, -v55
	v_add_f16_e32 v52, v23, v52
	v_fma_f16 v54, v80, s17, v53
	v_fma_f16 v53, v80, s17, -v53
	v_add_f16_e32 v51, v55, v51
	v_mul_f16_e32 v55, 0x35c8, v79
	v_add_f16_e32 v53, v23, v53
	v_add_f16_e32 v52, v56, v52
	v_fma_f16 v56, v78, s11, v55
	v_fma_f16 v55, v78, s11, -v55
	v_add_f16_e32 v54, v23, v54
	v_add_f16_e32 v53, v55, v53
	v_mul_f16_e32 v55, 0xbb29, v77
	v_add_f16_e32 v54, v56, v54
	v_fma_f16 v56, v76, s10, v55
	v_fma_f16 v55, v76, s10, -v55
	v_add_f16_e32 v43, v55, v43
	v_mul_f16_e32 v55, 0x3bb2, v77
	v_add_f16_e32 v44, v56, v44
	v_fma_f16 v56, v76, s3, v55
	v_fma_f16 v55, v76, s3, -v55
	;; [unrolled: 5-line block ×31, first 2 shown]
	v_add_f16_e32 v43, v55, v43
	v_pk_add_f16 v55, v60, v82
	v_add_f16_e32 v44, v56, v44
	v_add_f16_sdwa v56, v23, v55 dst_sel:DWORD dst_unused:UNUSED_PAD src0_sel:DWORD src1_sel:WORD_1
	v_add_f16_e32 v23, v23, v55
	v_pk_add_f16 v55, v62, v83
	v_add_f16_sdwa v56, v55, v56 dst_sel:DWORD dst_unused:UNUSED_PAD src0_sel:WORD_1 src1_sel:DWORD
	v_add_f16_e32 v23, v55, v23
	v_pk_add_f16 v55, v63, v84
	v_add_f16_sdwa v56, v55, v56 dst_sel:DWORD dst_unused:UNUSED_PAD src0_sel:WORD_1 src1_sel:DWORD
	;; [unrolled: 3-line block ×3, first 2 shown]
	v_add_f16_e32 v23, v55, v23
	v_pk_add_f16 v55, v65, v86
	v_pk_mul_f16 v88, v61, s18 op_sel_hi:[0,1]
	v_add_f16_sdwa v56, v55, v56 dst_sel:DWORD dst_unused:UNUSED_PAD src0_sel:WORD_1 src1_sel:DWORD
	v_add_f16_e32 v23, v55, v23
	v_pk_add_f16 v55, v67, v87
	v_pk_mul_f16 v89, v58, s19 op_sel_hi:[0,1]
	v_add_f16_sdwa v56, v55, v56 dst_sel:DWORD dst_unused:UNUSED_PAD src0_sel:WORD_1 src1_sel:DWORD
	v_add_f16_e32 v23, v55, v23
	v_pk_add_f16 v55, v68, v88
	v_add_f16_sdwa v56, v55, v56 dst_sel:DWORD dst_unused:UNUSED_PAD src0_sel:WORD_1 src1_sel:DWORD
	v_add_f16_e32 v23, v55, v23
	v_pk_add_f16 v55, v69, v89
	v_add_f16_sdwa v56, v55, v56 dst_sel:DWORD dst_unused:UNUSED_PAD src0_sel:WORD_1 src1_sel:DWORD
	v_add_f16_e32 v23, v55, v23
	v_mul_f16_e32 v55, 0x3964, v59
	v_add_f16_e32 v42, v42, v57
	v_fma_f16 v57, v58, s7, v55
	v_fma_f16 v55, v58, s7, -v55
	v_add_f16_e32 v45, v55, v45
	v_mul_f16_e32 v55, 0xba62, v59
	v_add_f16_e32 v46, v57, v46
	v_fma_f16 v57, v58, s6, v55
	v_fma_f16 v55, v58, s6, -v55
	v_add_f16_e32 v47, v55, v47
	v_mul_f16_e32 v55, 0x3b29, v59
	v_add_f16_e32 v48, v57, v48
	v_fma_f16 v57, v58, s10, v55
	v_fma_f16 v55, v58, s10, -v55
	v_add_f16_e32 v49, v55, v49
	v_mul_f16_e32 v55, 0xbbb2, v59
	v_mul_u32_u24_e32 v26, 34, v26
	v_add_f16_e32 v50, v57, v50
	v_fma_f16 v57, v58, s3, v55
	v_fma_f16 v55, v58, s3, -v55
	v_or_b32_e32 v25, v26, v25
	v_add_f16_e32 v51, v55, v51
	v_mul_f16_e32 v55, 0x3bf7, v59
	v_lshlrev_b32_e32 v25, 1, v25
	v_add_f16_e32 v52, v57, v52
	v_fma_f16 v57, v58, s2, v55
	v_fma_f16 v55, v58, s2, -v55
	v_add3_u32 v25, 0, v25, v12
	v_add_f16_e32 v54, v57, v54
	v_add_f16_e32 v53, v55, v53
	ds_write_b16 v25, v42
	ds_write_b16 v25, v44 offset:4
	ds_write_b16 v25, v56 offset:8
	;; [unrolled: 1-line block ×14, first 2 shown]
	ds_write_b16_d16_hi v25, v34 offset:60
	ds_write_b16 v25, v43 offset:64
.LBB0_28:
	s_or_b64 exec, exec, s[4:5]
	s_waitcnt lgkmcnt(0)
	s_barrier
	ds_read_u16 v23, v16
	ds_read_u16 v25, v18
	;; [unrolled: 1-line block ×7, first 2 shown]
	ds_read_u16 v52, v17 offset:1020
	ds_read_u16 v51, v17 offset:1156
	;; [unrolled: 1-line block ×7, first 2 shown]
	s_and_saveexec_b64 s[2:3], s[0:1]
	s_cbranch_execz .LBB0_30
; %bb.29:
	ds_read_u16 v34, v17 offset:952
	ds_read_u16 v53, v17 offset:1972
	s_mov_b32 s4, 0x5040100
	s_waitcnt lgkmcnt(0)
	v_perm_b32 v34, v53, v34, s4
.LBB0_30:
	s_or_b64 exec, exec, s[2:3]
	v_subrev_u32_e32 v53, 34, v8
	v_cndmask_b32_e64 v59, v53, v8, s[0:1]
	v_mov_b32_e32 v60, 0
	v_lshlrev_b64 v[53:54], 2, v[59:60]
	v_mov_b32_e32 v55, s9
	v_add_co_u32_e64 v53, s[2:3], s8, v53
	v_addc_co_u32_e64 v54, s[2:3], v55, v54, s[2:3]
	s_movk_i32 s2, 0xf1
	v_mul_lo_u16_sdwa v55, v11, s2 dst_sel:DWORD dst_unused:UNUSED_PAD src0_sel:BYTE_0 src1_sel:DWORD
	v_lshrrev_b16_e32 v60, 13, v55
	v_mul_lo_u16_e32 v55, 34, v60
	v_sub_u16_e32 v61, v11, v55
	v_mul_lo_u16_sdwa v55, v7, s2 dst_sel:DWORD dst_unused:UNUSED_PAD src0_sel:BYTE_0 src1_sel:DWORD
	v_lshrrev_b16_e32 v63, 13, v55
	v_mul_lo_u16_e32 v55, 34, v63
	v_mov_b32_e32 v11, 2
	v_sub_u16_e32 v64, v7, v55
	s_mov_b32 s2, 0xf0f1
	v_lshlrev_b32_sdwa v62, v11, v61 dst_sel:DWORD dst_unused:UNUSED_PAD src0_sel:DWORD src1_sel:BYTE_0
	v_lshlrev_b32_sdwa v65, v11, v64 dst_sel:DWORD dst_unused:UNUSED_PAD src0_sel:DWORD src1_sel:BYTE_0
	v_mul_u32_u24_sdwa v11, v9, s2 dst_sel:DWORD dst_unused:UNUSED_PAD src0_sel:WORD_0 src1_sel:DWORD
	v_lshrrev_b32_e32 v66, 21, v11
	v_mul_lo_u16_e32 v11, 34, v66
	v_sub_u16_e32 v67, v9, v11
	v_mul_u32_u24_sdwa v11, v10, s2 dst_sel:DWORD dst_unused:UNUSED_PAD src0_sel:WORD_0 src1_sel:DWORD
	v_lshrrev_b32_e32 v69, 21, v11
	v_mul_lo_u16_e32 v11, 34, v69
	v_sub_u16_e32 v70, v10, v11
	;; [unrolled: 4-line block ×4, first 2 shown]
	v_lshlrev_b32_e32 v68, 2, v67
	v_lshlrev_b32_e32 v71, 2, v70
	;; [unrolled: 1-line block ×3, first 2 shown]
	global_load_dword v57, v[53:54], off offset:128
	v_lshlrev_b32_e32 v53, 2, v76
	global_load_dword v58, v62, s[8:9] offset:128
	global_load_dword v56, v65, s[8:9] offset:128
	;; [unrolled: 1-line block ×6, first 2 shown]
	v_mul_u32_u24_sdwa v53, v4, s2 dst_sel:DWORD dst_unused:UNUSED_PAD src0_sel:WORD_0 src1_sel:DWORD
	v_lshrrev_b32_e32 v53, 21, v53
	v_mul_lo_u16_e32 v53, 34, v53
	v_sub_u16_e32 v62, v4, v53
	v_lshlrev_b32_e32 v4, 2, v62
	global_load_dword v4, v4, s[8:9] offset:128
	v_mov_b32_e32 v65, 0x88
	v_cmp_lt_u32_e64 s[2:3], 33, v8
	s_movk_i32 s4, 0x88
	s_waitcnt vmcnt(0) lgkmcnt(0)
	s_barrier
	v_lshrrev_b32_e32 v53, 16, v34
	v_lshrrev_b32_e32 v54, 16, v24
	v_mul_f16_sdwa v71, v51, v58 dst_sel:DWORD dst_unused:UNUSED_PAD src0_sel:DWORD src1_sel:WORD_1
	v_mul_f16_sdwa v74, v50, v56 dst_sel:DWORD dst_unused:UNUSED_PAD src0_sel:DWORD src1_sel:WORD_1
	;; [unrolled: 1-line block ×4, first 2 shown]
	v_fma_f16 v74, v31, v56, -v74
	v_mul_f16_sdwa v79, v47, v13 dst_sel:DWORD dst_unused:UNUSED_PAD src0_sel:DWORD src1_sel:WORD_1
	v_fma_f16 v77, v30, v55, -v77
	v_fma_f16 v78, v29, v14, -v78
	v_sub_f16_e32 v74, v36, v74
	v_mul_f16_sdwa v68, v52, v57 dst_sel:DWORD dst_unused:UNUSED_PAD src0_sel:DWORD src1_sel:WORD_1
	v_fma_f16 v79, v28, v13, -v79
	v_sub_f16_e32 v77, v37, v77
	v_sub_f16_e32 v78, v38, v78
	v_fma_f16 v81, v36, 2.0, -v74
	v_cndmask_b32_e64 v36, 0, v65, s[2:3]
	v_fma_f16 v68, v33, v57, -v68
	v_fma_f16 v71, v32, v58, -v71
	v_sub_f16_e32 v79, v39, v79
	v_fma_f16 v82, v37, 2.0, -v77
	v_fma_f16 v83, v38, 2.0, -v78
	v_add_u32_e32 v36, 0, v36
	v_lshlrev_b32_e32 v37, 1, v59
	v_mov_b32_e32 v38, 1
	v_sub_f16_e32 v68, v41, v68
	v_sub_f16_e32 v71, v35, v71
	v_fma_f16 v84, v39, 2.0, -v79
	v_add3_u32 v36, v36, v37, v12
	v_mad_u32_u24 v37, v60, s4, 0
	v_lshlrev_b32_sdwa v39, v38, v61 dst_sel:DWORD dst_unused:UNUSED_PAD src0_sel:DWORD src1_sel:BYTE_0
	v_fma_f16 v41, v41, 2.0, -v68
	v_fma_f16 v35, v35, 2.0, -v71
	v_add3_u32 v37, v37, v39, v12
	ds_write_b16 v36, v41
	ds_write_b16 v36, v68 offset:68
	ds_write_b16 v37, v35
	ds_write_b16 v37, v71 offset:68
	v_mad_u32_u24 v35, v63, s4, 0
	v_lshlrev_b32_sdwa v38, v38, v64 dst_sel:DWORD dst_unused:UNUSED_PAD src0_sel:DWORD src1_sel:BYTE_0
	v_add3_u32 v38, v35, v38, v12
	v_mad_u32_u24 v35, v66, s4, 0
	v_lshlrev_b32_e32 v39, 1, v67
	v_mul_f16_sdwa v80, v46, v11 dst_sel:DWORD dst_unused:UNUSED_PAD src0_sel:DWORD src1_sel:WORD_1
	v_add3_u32 v39, v35, v39, v12
	v_mad_u32_u24 v35, v69, s4, 0
	v_lshlrev_b32_e32 v41, 1, v70
	v_fma_f16 v80, v27, v11, -v80
	v_add3_u32 v41, v35, v41, v12
	v_mad_u32_u24 v35, v72, s4, 0
	v_lshlrev_b32_e32 v59, 1, v73
	v_sub_f16_e32 v80, v40, v80
	v_add3_u32 v59, v35, v59, v12
	v_mad_u32_u24 v35, v75, s4, 0
	v_lshlrev_b32_e32 v60, 1, v76
	v_fma_f16 v40, v40, 2.0, -v80
	v_add3_u32 v60, v35, v60, v12
	ds_write_b16 v38, v81
	ds_write_b16 v38, v74 offset:68
	ds_write_b16 v39, v82
	ds_write_b16 v39, v77 offset:68
	;; [unrolled: 2-line block ×5, first 2 shown]
	v_lshlrev_b32_e32 v40, 1, v62
	s_and_saveexec_b64 s[2:3], s[0:1]
	s_cbranch_execz .LBB0_32
; %bb.31:
	v_mul_f16_sdwa v35, v53, v4 dst_sel:DWORD dst_unused:UNUSED_PAD src0_sel:DWORD src1_sel:WORD_1
	v_fma_f16 v35, v54, v4, -v35
	v_sub_f16_e32 v35, v24, v35
	v_fma_f16 v24, v24, 2.0, -v35
	v_add3_u32 v61, 0, v40, v12
	ds_write_b16 v61, v24 offset:1904
	ds_write_b16 v61, v35 offset:1972
.LBB0_32:
	s_or_b64 exec, exec, s[2:3]
	v_mul_f16_sdwa v32, v32, v58 dst_sel:DWORD dst_unused:UNUSED_PAD src0_sel:DWORD src1_sel:WORD_1
	v_mul_f16_sdwa v31, v31, v56 dst_sel:DWORD dst_unused:UNUSED_PAD src0_sel:DWORD src1_sel:WORD_1
	;; [unrolled: 1-line block ×4, first 2 shown]
	v_fma_f16 v32, v51, v58, v32
	v_fma_f16 v31, v50, v56, v31
	;; [unrolled: 1-line block ×3, first 2 shown]
	v_mul_f16_sdwa v29, v29, v14 dst_sel:DWORD dst_unused:UNUSED_PAD src0_sel:DWORD src1_sel:WORD_1
	v_mul_f16_sdwa v28, v28, v13 dst_sel:DWORD dst_unused:UNUSED_PAD src0_sel:DWORD src1_sel:WORD_1
	;; [unrolled: 1-line block ×3, first 2 shown]
	v_fma_f16 v24, v52, v57, v24
	v_fma_f16 v14, v48, v14, v29
	;; [unrolled: 1-line block ×4, first 2 shown]
	v_sub_f16_e32 v47, v23, v32
	v_sub_f16_e32 v49, v25, v31
	;; [unrolled: 1-line block ×4, first 2 shown]
	v_fma_f16 v48, v23, 2.0, -v47
	v_fma_f16 v50, v25, 2.0, -v49
	;; [unrolled: 1-line block ×3, first 2 shown]
	v_sub_f16_e32 v55, v42, v14
	v_sub_f16_e32 v56, v43, v13
	;; [unrolled: 1-line block ×3, first 2 shown]
	s_waitcnt lgkmcnt(0)
	s_barrier
	ds_read_u16 v31, v22
	ds_read_u16 v14, v18
	;; [unrolled: 1-line block ×4, first 2 shown]
	ds_read_u16 v28, v17 offset:952
	ds_read_u16 v25, v17 offset:1088
	;; [unrolled: 1-line block ×5, first 2 shown]
	ds_read_u16 v33, v21
	ds_read_u16 v11, v20
	ds_read_u16 v35, v17 offset:1360
	ds_read_u16 v29, v17 offset:1224
	ds_read_u16 v23, v16
	ds_read_u16 v27, v17 offset:1904
	v_fma_f16 v45, v45, 2.0, -v46
	v_fma_f16 v42, v42, 2.0, -v55
	;; [unrolled: 1-line block ×4, first 2 shown]
	s_waitcnt lgkmcnt(0)
	s_barrier
	ds_write_b16 v36, v45
	ds_write_b16 v36, v46 offset:68
	ds_write_b16 v37, v48
	ds_write_b16 v37, v47 offset:68
	;; [unrolled: 2-line block ×7, first 2 shown]
	s_and_saveexec_b64 s[2:3], s[0:1]
	s_cbranch_execz .LBB0_34
; %bb.33:
	v_mul_f16_sdwa v36, v54, v4 dst_sel:DWORD dst_unused:UNUSED_PAD src0_sel:DWORD src1_sel:WORD_1
	v_fma_f16 v4, v53, v4, v36
	v_sub_f16_e32 v4, v34, v4
	v_fma_f16 v34, v34, 2.0, -v4
	v_add3_u32 v36, 0, v40, v12
	ds_write_b16 v36, v34 offset:1904
	ds_write_b16 v36, v4 offset:1972
.LBB0_34:
	s_or_b64 exec, exec, s[2:3]
	v_mov_b32_e32 v4, 0
	v_lshlrev_b64 v[36:37], 2, v[3:4]
	v_mov_b32_e32 v3, s9
	v_add_co_u32_e64 v36, s[0:1], s8, v36
	v_addc_co_u32_e64 v37, s[0:1], v3, v37, s[0:1]
	s_movk_i32 s0, 0x79
	v_mul_lo_u16_sdwa v3, v7, s0 dst_sel:DWORD dst_unused:UNUSED_PAD src0_sel:BYTE_0 src1_sel:DWORD
	s_mov_b32 s0, 0xf0f1
	v_lshrrev_b16_e32 v3, 13, v3
	v_mul_u32_u24_sdwa v34, v9, s0 dst_sel:DWORD dst_unused:UNUSED_PAD src0_sel:WORD_0 src1_sel:DWORD
	v_mul_lo_u16_e32 v3, 0x44, v3
	v_lshrrev_b32_e32 v34, 22, v34
	v_sub_u16_e32 v3, v7, v3
	v_mov_b32_e32 v7, 3
	v_mul_lo_u16_e32 v34, 0x44, v34
	v_lshlrev_b32_sdwa v7, v7, v3 dst_sel:DWORD dst_unused:UNUSED_PAD src0_sel:DWORD src1_sel:BYTE_0
	v_sub_u16_e32 v34, v9, v34
	v_mul_u32_u24_sdwa v9, v10, s0 dst_sel:DWORD dst_unused:UNUSED_PAD src0_sel:WORD_0 src1_sel:DWORD
	s_waitcnt lgkmcnt(0)
	s_barrier
	global_load_dwordx2 v[36:37], v[36:37], off offset:264
	v_lshrrev_b32_e32 v9, 22, v9
	global_load_dwordx2 v[38:39], v7, s[8:9] offset:264
	v_lshlrev_b32_e32 v7, 3, v34
	global_load_dwordx2 v[40:41], v7, s[8:9] offset:264
	v_mul_lo_u16_e32 v7, 0x44, v9
	v_sub_u16_e32 v7, v10, v7
	v_lshlrev_b32_e32 v9, 3, v7
	global_load_dwordx2 v[9:10], v9, s[8:9] offset:264
	ds_read_u16 v42, v22
	ds_read_u16 v43, v18
	;; [unrolled: 1-line block ×4, first 2 shown]
	ds_read_u16 v46, v17 offset:952
	ds_read_u16 v47, v17 offset:1088
	;; [unrolled: 1-line block ×5, first 2 shown]
	ds_read_u16 v51, v21
	ds_read_u16 v52, v20
	ds_read_u16 v53, v17 offset:1360
	ds_read_u16 v54, v17 offset:1224
	ds_read_u16 v55, v16
	ds_read_u16 v56, v17 offset:1904
	v_mov_b32_e32 v57, 1
	v_lshlrev_b32_sdwa v3, v57, v3 dst_sel:DWORD dst_unused:UNUSED_PAD src0_sel:DWORD src1_sel:BYTE_0
	s_movk_i32 s0, 0x3aee
	s_mov_b32 s1, 0xbaee
	v_lshlrev_b32_e32 v34, 1, v34
	v_lshlrev_b32_e32 v7, 1, v7
	s_waitcnt vmcnt(0) lgkmcnt(0)
	s_barrier
	v_add3_u32 v34, 0, v34, v12
	v_add3_u32 v7, 0, v7, v12
	v_mul_f16_sdwa v57, v51, v36 dst_sel:DWORD dst_unused:UNUSED_PAD src0_sel:DWORD src1_sel:WORD_1
	v_mul_f16_sdwa v58, v33, v36 dst_sel:DWORD dst_unused:UNUSED_PAD src0_sel:DWORD src1_sel:WORD_1
	;; [unrolled: 1-line block ×8, first 2 shown]
	v_fma_f16 v33, v33, v36, -v57
	v_fma_f16 v51, v51, v36, v58
	v_fma_f16 v35, v35, v37, -v59
	v_fma_f16 v53, v53, v37, v60
	;; [unrolled: 2-line block ×4, first 2 shown]
	v_mul_f16_sdwa v42, v46, v38 dst_sel:DWORD dst_unused:UNUSED_PAD src0_sel:DWORD src1_sel:WORD_1
	v_mul_f16_sdwa v48, v28, v38 dst_sel:DWORD dst_unused:UNUSED_PAD src0_sel:DWORD src1_sel:WORD_1
	;; [unrolled: 1-line block ×3, first 2 shown]
	v_fma_f16 v28, v28, v38, -v42
	v_fma_f16 v38, v46, v38, v48
	v_fma_f16 v42, v27, v10, -v65
	v_mul_f16_sdwa v27, v27, v10 dst_sel:DWORD dst_unused:UNUSED_PAD src0_sel:DWORD src1_sel:WORD_1
	v_add_f16_e32 v46, v33, v35
	v_mul_f16_sdwa v59, v47, v40 dst_sel:DWORD dst_unused:UNUSED_PAD src0_sel:DWORD src1_sel:WORD_1
	v_mul_f16_sdwa v60, v25, v40 dst_sel:DWORD dst_unused:UNUSED_PAD src0_sel:DWORD src1_sel:WORD_1
	v_fma_f16 v10, v56, v10, v27
	v_add_f16_e32 v27, v24, v33
	v_fma_f16 v24, v46, -0.5, v24
	v_sub_f16_e32 v46, v51, v53
	v_add_f16_e32 v48, v51, v53
	v_fma_f16 v25, v25, v40, -v59
	v_fma_f16 v40, v47, v40, v60
	v_fma_f16 v47, v46, s0, v24
	;; [unrolled: 1-line block ×3, first 2 shown]
	v_add_f16_e32 v46, v45, v51
	v_fma_f16 v45, v48, -0.5, v45
	v_sub_f16_e32 v33, v33, v35
	v_add_f16_e32 v48, v31, v32
	v_mul_f16_sdwa v57, v49, v39 dst_sel:DWORD dst_unused:UNUSED_PAD src0_sel:DWORD src1_sel:WORD_1
	v_mul_f16_sdwa v58, v30, v39 dst_sel:DWORD dst_unused:UNUSED_PAD src0_sel:DWORD src1_sel:WORD_1
	v_add_f16_e32 v27, v27, v35
	v_fma_f16 v35, v33, s1, v45
	v_fma_f16 v33, v33, s0, v45
	v_add_f16_e32 v45, v23, v31
	v_fma_f16 v23, v48, -0.5, v23
	v_sub_f16_e32 v48, v36, v37
	v_fma_f16 v30, v30, v39, -v57
	v_fma_f16 v39, v49, v39, v58
	v_fma_f16 v49, v48, s0, v23
	;; [unrolled: 1-line block ×3, first 2 shown]
	v_add_f16_e32 v48, v55, v36
	v_add_f16_e32 v36, v36, v37
	;; [unrolled: 1-line block ×3, first 2 shown]
	v_fma_f16 v36, v36, -0.5, v55
	v_sub_f16_e32 v31, v31, v32
	v_add_f16_e32 v37, v28, v30
	v_mul_f16_sdwa v61, v50, v41 dst_sel:DWORD dst_unused:UNUSED_PAD src0_sel:DWORD src1_sel:WORD_1
	v_mul_f16_sdwa v62, v26, v41 dst_sel:DWORD dst_unused:UNUSED_PAD src0_sel:DWORD src1_sel:WORD_1
	v_add_f16_e32 v45, v45, v32
	v_fma_f16 v32, v31, s1, v36
	v_fma_f16 v31, v31, s0, v36
	v_add_f16_e32 v36, v14, v28
	v_fma_f16 v14, v37, -0.5, v14
	v_sub_f16_e32 v37, v38, v39
	v_fma_f16 v26, v26, v41, -v61
	v_fma_f16 v41, v50, v41, v62
	v_fma_f16 v50, v37, s0, v14
	;; [unrolled: 1-line block ×3, first 2 shown]
	v_add_f16_e32 v37, v43, v38
	v_add_f16_e32 v38, v38, v39
	;; [unrolled: 1-line block ×3, first 2 shown]
	v_fma_f16 v38, v38, -0.5, v43
	v_sub_f16_e32 v28, v28, v30
	v_add_f16_e32 v30, v25, v26
	v_add_f16_e32 v37, v37, v39
	v_fma_f16 v39, v28, s1, v38
	v_fma_f16 v38, v28, s0, v38
	v_add_f16_e32 v28, v13, v25
	v_fma_f16 v13, v30, -0.5, v13
	v_sub_f16_e32 v30, v40, v41
	v_mul_f16_sdwa v63, v54, v9 dst_sel:DWORD dst_unused:UNUSED_PAD src0_sel:DWORD src1_sel:WORD_1
	v_fma_f16 v43, v30, s0, v13
	v_fma_f16 v13, v30, s1, v13
	v_add_f16_e32 v30, v44, v40
	v_mul_f16_sdwa v64, v29, v9 dst_sel:DWORD dst_unused:UNUSED_PAD src0_sel:DWORD src1_sel:WORD_1
	v_fma_f16 v29, v29, v9, -v63
	v_add_f16_e32 v51, v30, v41
	v_add_f16_e32 v30, v40, v41
	v_fma_f16 v9, v54, v9, v64
	v_add_f16_e32 v28, v28, v26
	v_fma_f16 v30, v30, -0.5, v44
	v_sub_f16_e32 v25, v25, v26
	v_add_f16_e32 v26, v29, v42
	v_fma_f16 v40, v25, s1, v30
	v_fma_f16 v41, v25, s0, v30
	v_add_f16_e32 v25, v11, v29
	v_fma_f16 v11, v26, -0.5, v11
	v_sub_f16_e32 v26, v9, v10
	v_fma_f16 v30, v26, s0, v11
	v_fma_f16 v11, v26, s1, v11
	v_add_f16_e32 v26, v52, v9
	v_add_f16_e32 v9, v9, v10
	;; [unrolled: 1-line block ×4, first 2 shown]
	v_fma_f16 v9, v9, -0.5, v52
	v_sub_f16_e32 v10, v29, v42
	ds_write_b16 v17, v27
	ds_write_b16 v17, v47 offset:136
	ds_write_b16 v17, v24 offset:272
	;; [unrolled: 1-line block ×5, first 2 shown]
	v_add3_u32 v45, 0, v3, v12
	v_fma_f16 v42, v10, s1, v9
	v_fma_f16 v52, v10, s0, v9
	ds_write_b16 v45, v36 offset:816
	ds_write_b16 v45, v50 offset:952
	ds_write_b16 v45, v14 offset:1088
	ds_write_b16 v34, v28 offset:1224
	ds_write_b16 v34, v43 offset:1360
	ds_write_b16 v34, v13 offset:1496
	ds_write_b16 v7, v25 offset:1632
	ds_write_b16 v7, v30 offset:1768
	ds_write_b16 v7, v11 offset:1904
	s_waitcnt lgkmcnt(0)
	s_barrier
	ds_read_u16 v23, v20
	ds_read_u16 v9, v15
	ds_read_u16 v26, v17 offset:952
	ds_read_u16 v25, v17 offset:1360
	;; [unrolled: 1-line block ×3, first 2 shown]
	ds_read_u16 v12, v22
	ds_read_u16 v3, v21
	;; [unrolled: 1-line block ×4, first 2 shown]
	ds_read_u16 v11, v17 offset:1632
	ds_read_u16 v28, v17 offset:1496
	ds_read_u16 v13, v17 offset:1224
	ds_read_u16 v30, v17 offset:1088
	ds_read_u16 v14, v16
	ds_read_u16 v29, v17 offset:1904
	v_add_f16_e32 v46, v46, v53
	s_waitcnt lgkmcnt(0)
	s_barrier
	ds_write_b16 v17, v46
	ds_write_b16 v17, v35 offset:136
	ds_write_b16 v17, v33 offset:272
	;; [unrolled: 1-line block ×14, first 2 shown]
	s_waitcnt lgkmcnt(0)
	s_barrier
	s_and_saveexec_b64 s[0:1], vcc
	s_cbranch_execz .LBB0_36
; %bb.35:
	v_mov_b32_e32 v7, v4
	v_lshlrev_b64 v[6:7], 2, v[6:7]
	v_mov_b32_e32 v35, s9
	v_add_co_u32_e32 v6, vcc, s8, v6
	v_addc_co_u32_e32 v7, vcc, v35, v7, vcc
	global_load_dwordx4 v[31:34], v[6:7], off offset:808
	v_mov_b32_e32 v6, v4
	ds_read_u16 v7, v17 offset:1904
	v_lshlrev_b64 v[5:6], 2, v[5:6]
	ds_read_u16 v36, v17 offset:1768
	ds_read_u16 v37, v17 offset:1632
	;; [unrolled: 1-line block ×7, first 2 shown]
	ds_read_u16 v22, v22
	ds_read_u16 v21, v21
	;; [unrolled: 1-line block ×6, first 2 shown]
	v_add_co_u32_e32 v5, vcc, s8, v5
	v_addc_co_u32_e32 v6, vcc, v35, v6, vcc
	global_load_dwordx4 v[16:19], v[5:6], off offset:808
	s_movk_i32 s0, 0x3b9c
	s_mov_b32 s3, 0xbb9c
	s_movk_i32 s1, 0x38b4
	s_mov_b32 s4, 0xb8b4
	s_movk_i32 s2, 0x34f2
	ds_read_u16 v15, v15
	s_waitcnt vmcnt(1)
	v_mul_f16_sdwa v5, v3, v31 dst_sel:DWORD dst_unused:UNUSED_PAD src0_sel:DWORD src1_sel:WORD_1
	v_mul_f16_sdwa v6, v30, v32 dst_sel:DWORD dst_unused:UNUSED_PAD src0_sel:DWORD src1_sel:WORD_1
	;; [unrolled: 1-line block ×4, first 2 shown]
	s_waitcnt lgkmcnt(8)
	v_mul_f16_sdwa v48, v41, v32 dst_sel:DWORD dst_unused:UNUSED_PAD src0_sel:DWORD src1_sel:WORD_1
	v_mul_f16_sdwa v49, v38, v33 dst_sel:DWORD dst_unused:UNUSED_PAD src0_sel:DWORD src1_sel:WORD_1
	s_waitcnt lgkmcnt(5)
	v_mul_f16_sdwa v50, v21, v31 dst_sel:DWORD dst_unused:UNUSED_PAD src0_sel:DWORD src1_sel:WORD_1
	v_mul_f16_sdwa v51, v7, v34 dst_sel:DWORD dst_unused:UNUSED_PAD src0_sel:DWORD src1_sel:WORD_1
	v_fma_f16 v5, v21, v31, v5
	v_fma_f16 v6, v41, v32, v6
	;; [unrolled: 1-line block ×4, first 2 shown]
	v_fma_f16 v30, v30, v32, -v48
	v_fma_f16 v28, v28, v33, -v49
	v_fma_f16 v31, v3, v31, -v50
	v_fma_f16 v29, v29, v34, -v51
	v_sub_f16_e32 v3, v5, v6
	v_sub_f16_e32 v32, v7, v21
	v_add_f16_e32 v38, v6, v21
	v_sub_f16_e32 v34, v31, v29
	v_sub_f16_e32 v41, v31, v30
	;; [unrolled: 1-line block ×3, first 2 shown]
	v_add_f16_e32 v47, v30, v28
	v_add_f16_e32 v52, v5, v7
	;; [unrolled: 1-line block ×3, first 2 shown]
	s_waitcnt lgkmcnt(2)
	v_fma_f16 v32, v38, -0.5, v44
	v_sub_f16_e32 v33, v30, v28
	v_add_f16_e32 v38, v41, v46
	v_fma_f16 v41, v47, -0.5, v27
	v_fma_f16 v47, v52, -0.5, v44
	v_fma_f16 v52, v34, s0, v32
	v_fma_f16 v32, v34, s3, v32
	v_sub_f16_e32 v48, v5, v7
	v_fma_f16 v52, v33, s1, v52
	v_fma_f16 v32, v33, s4, v32
	v_sub_f16_e32 v49, v6, v21
	v_fma_f16 v52, v3, s2, v52
	v_fma_f16 v32, v3, s2, v32
	;; [unrolled: 1-line block ×3, first 2 shown]
	v_sub_f16_e32 v50, v6, v5
	v_sub_f16_e32 v51, v21, v7
	;; [unrolled: 1-line block ×4, first 2 shown]
	v_fma_f16 v3, v49, s1, v3
	v_add_f16_e32 v46, v50, v51
	v_add_f16_e32 v50, v53, v54
	v_fma_f16 v54, v33, s3, v47
	v_fma_f16 v47, v33, s0, v47
	;; [unrolled: 1-line block ×3, first 2 shown]
	v_add_f16_e32 v3, v5, v44
	v_add_f16_e32 v6, v6, v3
	v_mov_b32_e32 v3, v4
	v_lshlrev_b64 v[2:3], 2, v[2:3]
	v_add_f16_e32 v6, v21, v6
	v_add_co_u32_e32 v2, vcc, s8, v2
	v_addc_co_u32_e32 v3, vcc, v35, v3, vcc
	global_load_dwordx4 v[2:5], v[2:3], off offset:808
	v_add_f16_e32 v6, v7, v6
	v_add_f16_e32 v7, v27, v31
	;; [unrolled: 1-line block ×5, first 2 shown]
	v_fma_f16 v51, v55, -0.5, v27
	v_add_f16_e32 v7, v29, v7
	s_waitcnt vmcnt(1)
	v_mul_f16_sdwa v21, v23, v16 dst_sel:DWORD dst_unused:UNUSED_PAD src0_sel:DWORD src1_sel:WORD_1
	v_mul_f16_sdwa v27, v26, v17 dst_sel:DWORD dst_unused:UNUSED_PAD src0_sel:DWORD src1_sel:WORD_1
	;; [unrolled: 1-line block ×4, first 2 shown]
	v_fma_f16 v21, v20, v16, v21
	v_fma_f16 v27, v42, v17, v27
	;; [unrolled: 1-line block ×4, first 2 shown]
	v_sub_f16_e32 v28, v21, v27
	v_sub_f16_e32 v31, v29, v30
	v_add_f16_e32 v28, v28, v31
	v_mul_f16_sdwa v31, v42, v17 dst_sel:DWORD dst_unused:UNUSED_PAD src0_sel:DWORD src1_sel:WORD_1
	v_mul_f16_sdwa v20, v20, v16 dst_sel:DWORD dst_unused:UNUSED_PAD src0_sel:DWORD src1_sel:WORD_1
	v_fma_f16 v53, v48, s3, v41
	v_fma_f16 v17, v26, v17, -v31
	v_mul_f16_sdwa v26, v39, v18 dst_sel:DWORD dst_unused:UNUSED_PAD src0_sel:DWORD src1_sel:WORD_1
	v_fma_f16 v16, v23, v16, -v20
	v_mul_f16_sdwa v20, v36, v19 dst_sel:DWORD dst_unused:UNUSED_PAD src0_sel:DWORD src1_sel:WORD_1
	v_fma_f16 v53, v49, s4, v53
	v_fma_f16 v18, v25, v18, -v26
	v_fma_f16 v19, v24, v19, -v20
	v_fma_f16 v53, v38, s2, v53
	v_sub_f16_e32 v26, v16, v17
	v_sub_f16_e32 v31, v19, v18
	;; [unrolled: 1-line block ×6, first 2 shown]
	v_add_f16_e32 v26, v26, v31
	v_add_f16_e32 v31, v17, v18
	;; [unrolled: 1-line block ×6, first 2 shown]
	v_sub_f16_e32 v25, v17, v18
	v_add_f16_e32 v23, v27, v30
	v_fma_f16 v31, v31, -0.5, v14
	s_waitcnt lgkmcnt(1)
	v_fma_f16 v39, v39, -0.5, v45
	v_fma_f16 v44, v44, -0.5, v14
	v_add_f16_e32 v14, v14, v16
	v_sub_f16_e32 v20, v16, v19
	v_fma_f16 v23, v23, -0.5, v45
	v_fma_f16 v41, v25, s3, v39
	v_fma_f16 v39, v25, s0, v39
	v_add_f16_e32 v14, v14, v17
	v_fma_f16 v24, v20, s0, v23
	v_fma_f16 v41, v20, s1, v41
	;; [unrolled: 1-line block ×4, first 2 shown]
	v_add_f16_e32 v14, v14, v18
	v_fma_f16 v54, v34, s1, v54
	v_fma_f16 v47, v34, s4, v47
	v_fma_f16 v24, v25, s1, v24
	v_sub_f16_e32 v34, v21, v29
	v_fma_f16 v20, v25, s4, v20
	v_add_f16_e32 v21, v21, v45
	v_add_f16_e32 v14, v19, v14
	;; [unrolled: 1-line block ×3, first 2 shown]
	v_fma_f16 v35, v34, s3, v31
	v_sub_f16_e32 v36, v27, v30
	v_fma_f16 v23, v34, s0, v31
	v_add_f16_e32 v21, v30, v21
	v_fma_f16 v55, v49, s0, v51
	v_fma_f16 v51, v49, s3, v51
	;; [unrolled: 1-line block ×10, first 2 shown]
	s_waitcnt vmcnt(0)
	v_mul_f16_sdwa v17, v12, v3 dst_sel:DWORD dst_unused:UNUSED_PAD src0_sel:DWORD src1_sel:WORD_1
	v_mul_f16_sdwa v16, v10, v2 dst_sel:DWORD dst_unused:UNUSED_PAD src0_sel:DWORD src1_sel:WORD_1
	v_fma_f16 v17, v22, v3, v17
	v_mul_f16_sdwa v19, v11, v5 dst_sel:DWORD dst_unused:UNUSED_PAD src0_sel:DWORD src1_sel:WORD_1
	v_mul_f16_sdwa v25, v13, v4 dst_sel:DWORD dst_unused:UNUSED_PAD src0_sel:DWORD src1_sel:WORD_1
	;; [unrolled: 1-line block ×3, first 2 shown]
	v_fma_f16 v16, v43, v2, v16
	v_fma_f16 v19, v37, v5, v19
	;; [unrolled: 1-line block ×3, first 2 shown]
	v_fma_f16 v12, v12, v3, -v22
	v_mul_f16_sdwa v3, v40, v4 dst_sel:DWORD dst_unused:UNUSED_PAD src0_sel:DWORD src1_sel:WORD_1
	v_fma_f16 v13, v13, v4, -v3
	v_mul_f16_sdwa v4, v43, v2 dst_sel:DWORD dst_unused:UNUSED_PAD src0_sel:DWORD src1_sel:WORD_1
	v_sub_f16_e32 v30, v17, v16
	v_sub_f16_e32 v31, v25, v19
	v_fma_f16 v4, v10, v2, -v4
	v_mul_f16_sdwa v2, v37, v5 dst_sel:DWORD dst_unused:UNUSED_PAD src0_sel:DWORD src1_sel:WORD_1
	v_add_f16_e32 v30, v30, v31
	v_add_f16_e32 v31, v16, v19
	v_fma_f16 v39, v36, s3, v44
	v_fma_f16 v23, v26, s2, v23
	v_sub_f16_e32 v18, v16, v17
	v_sub_f16_e32 v26, v19, v25
	;; [unrolled: 1-line block ×3, first 2 shown]
	v_fma_f16 v5, v11, v5, -v2
	v_add_f16_e32 v10, v17, v25
	s_waitcnt lgkmcnt(0)
	v_fma_f16 v31, v31, -0.5, v15
	v_fma_f16 v48, v34, s4, v48
	v_fma_f16 v39, v34, s1, v39
	v_add_f16_e32 v18, v18, v26
	v_sub_f16_e32 v2, v4, v5
	v_fma_f16 v10, v10, -0.5, v15
	v_sub_f16_e32 v22, v4, v12
	v_sub_f16_e32 v26, v5, v13
	v_fma_f16 v34, v3, s3, v31
	v_fma_f16 v31, v3, s0, v31
	;; [unrolled: 1-line block ×3, first 2 shown]
	v_add_f16_e32 v22, v22, v26
	v_add_f16_e32 v26, v12, v13
	v_fma_f16 v34, v2, s1, v34
	v_fma_f16 v31, v2, s4, v31
	;; [unrolled: 1-line block ×3, first 2 shown]
	v_fma_f16 v26, v26, -0.5, v9
	v_sub_f16_e32 v27, v16, v19
	v_sub_f16_e32 v36, v12, v4
	;; [unrolled: 1-line block ×3, first 2 shown]
	v_fma_f16 v2, v3, s4, v2
	v_add_f16_e32 v21, v29, v21
	v_sub_f16_e32 v29, v17, v25
	v_add_f16_e32 v36, v36, v37
	v_add_f16_e32 v37, v4, v5
	v_fma_f16 v10, v18, s2, v2
	v_fma_f16 v2, v27, s0, v26
	;; [unrolled: 1-line block ×3, first 2 shown]
	v_fma_f16 v37, v37, -0.5, v9
	v_fma_f16 v2, v29, s1, v2
	v_fma_f16 v11, v18, s2, v11
	;; [unrolled: 1-line block ×6, first 2 shown]
	v_add_f16_e32 v2, v16, v15
	v_fma_f16 v40, v29, s0, v37
	v_fma_f16 v31, v27, s1, v31
	v_add_f16_e32 v15, v17, v2
	v_mad_u64_u32 v[2:3], s[0:1], s12, v8, 0
	v_add_f16_e32 v9, v9, v4
	v_add_co_u32_e32 v16, vcc, s14, v0
	v_mad_u64_u32 v[3:4], s[0:1], s13, v8, v[3:4]
	v_add_f16_e32 v4, v9, v12
	v_add_f16_e32 v4, v4, v13
	v_add_u32_e32 v13, 0xcc, v8
	v_add_f16_e32 v9, v5, v4
	v_mad_u64_u32 v[4:5], s[0:1], s12, v13, 0
	v_mov_b32_e32 v12, s15
	v_addc_co_u32_e32 v12, vcc, v12, v1, vcc
	v_lshlrev_b64 v[0:1], 2, v[2:3]
	v_mov_b32_e32 v2, v5
	v_mad_u64_u32 v[2:3], s[0:1], s13, v13, v[2:3]
	v_add_f16_e32 v15, v25, v15
	v_add_f16_e32 v15, v19, v15
	v_add_co_u32_e32 v0, vcc, v16, v0
	v_addc_co_u32_e32 v1, vcc, v12, v1, vcc
	v_pack_b32_f16 v3, v9, v15
	v_mov_b32_e32 v5, v2
	global_store_dword v[0:1], v3, off
	v_lshlrev_b64 v[0:1], 2, v[4:5]
	v_add_u32_e32 v4, 0x198, v8
	v_mad_u64_u32 v[2:3], s[0:1], s12, v4, 0
	v_pack_b32_f16 v9, v18, v10
	v_add_u32_e32 v10, 0x264, v8
	v_mad_u64_u32 v[3:4], s[0:1], s13, v4, v[3:4]
	v_mad_u64_u32 v[4:5], s[0:1], s12, v10, 0
	v_add_co_u32_e32 v0, vcc, v16, v0
	v_addc_co_u32_e32 v1, vcc, v12, v1, vcc
	global_store_dword v[0:1], v9, off
	v_lshlrev_b64 v[0:1], 2, v[2:3]
	v_mov_b32_e32 v2, v5
	v_mad_u64_u32 v[2:3], s[0:1], s13, v10, v[2:3]
	v_fma_f16 v31, v36, s2, v31
	v_add_co_u32_e32 v0, vcc, v16, v0
	v_addc_co_u32_e32 v1, vcc, v12, v1, vcc
	v_pack_b32_f16 v3, v31, v30
	v_mov_b32_e32 v5, v2
	global_store_dword v[0:1], v3, off
	v_lshlrev_b64 v[0:1], 2, v[4:5]
	v_add_u32_e32 v4, 0x330, v8
	v_mad_u64_u32 v[2:3], s[0:1], s12, v4, 0
	v_fma_f16 v40, v27, s4, v40
	v_fma_f16 v40, v36, s2, v40
	v_add_co_u32_e32 v0, vcc, v16, v0
	v_fma_f16 v24, v28, s2, v24
	v_fma_f16 v20, v28, s2, v20
	;; [unrolled: 1-line block ×3, first 2 shown]
	v_addc_co_u32_e32 v1, vcc, v12, v1, vcc
	v_pack_b32_f16 v5, v40, v34
	v_fma_f16 v28, v29, s4, v28
	global_store_dword v[0:1], v5, off
	v_mov_b32_e32 v0, v3
	v_fma_f16 v54, v46, s2, v54
	v_fma_f16 v55, v50, s2, v55
	;; [unrolled: 1-line block ×7, first 2 shown]
	v_mad_u64_u32 v[0:1], s[0:1], s13, v4, v[0:1]
	v_add_u32_e32 v4, 0x44, v8
	s_mov_b32 s2, 0xa0a0a0a1
	v_mul_hi_u32 v5, v4, s2
	v_mov_b32_e32 v3, v0
	s_movk_i32 s3, 0x330
	v_lshlrev_b64 v[0:1], 2, v[2:3]
	v_lshrrev_b32_e32 v2, 7, v5
	v_mad_u32_u24 v9, v2, s3, v4
	v_mad_u64_u32 v[2:3], s[0:1], s12, v9, 0
	v_pack_b32_f16 v10, v28, v11
	v_add_u32_e32 v11, 0xcc, v9
	v_mad_u64_u32 v[3:4], s[0:1], s13, v9, v[3:4]
	v_mad_u64_u32 v[4:5], s[0:1], s12, v11, 0
	v_add_co_u32_e32 v0, vcc, v16, v0
	v_addc_co_u32_e32 v1, vcc, v12, v1, vcc
	global_store_dword v[0:1], v10, off
	v_lshlrev_b64 v[0:1], 2, v[2:3]
	v_mov_b32_e32 v2, v5
	v_mad_u64_u32 v[2:3], s[0:1], s13, v11, v[2:3]
	v_add_co_u32_e32 v0, vcc, v16, v0
	v_addc_co_u32_e32 v1, vcc, v12, v1, vcc
	v_pack_b32_f16 v3, v14, v21
	v_mov_b32_e32 v5, v2
	global_store_dword v[0:1], v3, off
	v_lshlrev_b64 v[0:1], 2, v[4:5]
	v_add_u32_e32 v4, 0x198, v9
	v_mad_u64_u32 v[2:3], s[0:1], s12, v4, 0
	v_add_u32_e32 v11, 0x264, v9
	v_add_co_u32_e32 v0, vcc, v16, v0
	v_mad_u64_u32 v[3:4], s[0:1], s13, v4, v[3:4]
	v_mad_u64_u32 v[4:5], s[0:1], s12, v11, 0
	v_addc_co_u32_e32 v1, vcc, v12, v1, vcc
	v_pack_b32_f16 v10, v23, v20
	global_store_dword v[0:1], v10, off
	v_lshlrev_b64 v[0:1], 2, v[2:3]
	v_mov_b32_e32 v2, v5
	v_mad_u64_u32 v[2:3], s[0:1], s13, v11, v[2:3]
	v_add_co_u32_e32 v0, vcc, v16, v0
	v_addc_co_u32_e32 v1, vcc, v12, v1, vcc
	v_pack_b32_f16 v3, v39, v38
	v_mov_b32_e32 v5, v2
	global_store_dword v[0:1], v3, off
	v_lshlrev_b64 v[0:1], 2, v[4:5]
	v_add_u32_e32 v4, 0x330, v9
	v_mad_u64_u32 v[2:3], s[0:1], s12, v4, 0
	v_add_u32_e32 v5, 0x88, v8
	v_mul_hi_u32 v8, v5, s2
	v_mad_u64_u32 v[3:4], s[0:1], s13, v4, v[3:4]
	v_add_co_u32_e32 v0, vcc, v16, v0
	v_lshrrev_b32_e32 v4, 7, v8
	v_mad_u32_u24 v8, v4, s3, v5
	v_mad_u64_u32 v[4:5], s[0:1], s12, v8, 0
	v_addc_co_u32_e32 v1, vcc, v12, v1, vcc
	v_pack_b32_f16 v9, v48, v41
	global_store_dword v[0:1], v9, off
	v_lshlrev_b64 v[0:1], 2, v[2:3]
	v_mov_b32_e32 v2, v5
	v_mad_u64_u32 v[2:3], s[0:1], s13, v8, v[2:3]
	v_add_co_u32_e32 v0, vcc, v16, v0
	v_addc_co_u32_e32 v1, vcc, v12, v1, vcc
	v_pack_b32_f16 v3, v35, v24
	v_mov_b32_e32 v5, v2
	global_store_dword v[0:1], v3, off
	v_lshlrev_b64 v[0:1], 2, v[4:5]
	v_add_u32_e32 v4, 0xcc, v8
	v_mad_u64_u32 v[2:3], s[0:1], s12, v4, 0
	v_pack_b32_f16 v6, v7, v6
	v_add_u32_e32 v7, 0x198, v8
	v_mad_u64_u32 v[3:4], s[0:1], s13, v4, v[3:4]
	v_mad_u64_u32 v[4:5], s[0:1], s12, v7, 0
	v_add_co_u32_e32 v0, vcc, v16, v0
	v_addc_co_u32_e32 v1, vcc, v12, v1, vcc
	global_store_dword v[0:1], v6, off
	v_lshlrev_b64 v[0:1], 2, v[2:3]
	v_mov_b32_e32 v2, v5
	v_mad_u64_u32 v[2:3], s[0:1], s13, v7, v[2:3]
	v_add_co_u32_e32 v0, vcc, v16, v0
	v_addc_co_u32_e32 v1, vcc, v12, v1, vcc
	v_pack_b32_f16 v3, v33, v32
	v_mov_b32_e32 v5, v2
	global_store_dword v[0:1], v3, off
	v_lshlrev_b64 v[0:1], 2, v[4:5]
	v_add_u32_e32 v4, 0x264, v8
	v_mad_u64_u32 v[2:3], s[0:1], s12, v4, 0
	v_add_u32_e32 v7, 0x330, v8
	v_add_co_u32_e32 v0, vcc, v16, v0
	v_mad_u64_u32 v[3:4], s[0:1], s13, v4, v[3:4]
	v_mad_u64_u32 v[4:5], s[0:1], s12, v7, 0
	v_addc_co_u32_e32 v1, vcc, v12, v1, vcc
	v_pack_b32_f16 v6, v47, v46
	global_store_dword v[0:1], v6, off
	v_lshlrev_b64 v[0:1], 2, v[2:3]
	v_mov_b32_e32 v2, v5
	v_mad_u64_u32 v[2:3], s[0:1], s13, v7, v[2:3]
	v_add_co_u32_e32 v0, vcc, v16, v0
	v_addc_co_u32_e32 v1, vcc, v12, v1, vcc
	v_pack_b32_f16 v3, v55, v54
	v_mov_b32_e32 v5, v2
	global_store_dword v[0:1], v3, off
	v_lshlrev_b64 v[0:1], 2, v[4:5]
	v_pack_b32_f16 v2, v53, v52
	v_add_co_u32_e32 v0, vcc, v16, v0
	v_addc_co_u32_e32 v1, vcc, v12, v1, vcc
	global_store_dword v[0:1], v2, off
.LBB0_36:
	s_endpgm
	.section	.rodata,"a",@progbits
	.p2align	6, 0x0
	.amdhsa_kernel fft_rtc_fwd_len1020_factors_2_17_2_3_5_wgs_204_tpt_68_halfLds_half_ip_CI_sbrr_dirReg
		.amdhsa_group_segment_fixed_size 0
		.amdhsa_private_segment_fixed_size 0
		.amdhsa_kernarg_size 88
		.amdhsa_user_sgpr_count 6
		.amdhsa_user_sgpr_private_segment_buffer 1
		.amdhsa_user_sgpr_dispatch_ptr 0
		.amdhsa_user_sgpr_queue_ptr 0
		.amdhsa_user_sgpr_kernarg_segment_ptr 1
		.amdhsa_user_sgpr_dispatch_id 0
		.amdhsa_user_sgpr_flat_scratch_init 0
		.amdhsa_user_sgpr_private_segment_size 0
		.amdhsa_uses_dynamic_stack 0
		.amdhsa_system_sgpr_private_segment_wavefront_offset 0
		.amdhsa_system_sgpr_workgroup_id_x 1
		.amdhsa_system_sgpr_workgroup_id_y 0
		.amdhsa_system_sgpr_workgroup_id_z 0
		.amdhsa_system_sgpr_workgroup_info 0
		.amdhsa_system_vgpr_workitem_id 0
		.amdhsa_next_free_vgpr 103
		.amdhsa_next_free_sgpr 24
		.amdhsa_reserve_vcc 1
		.amdhsa_reserve_flat_scratch 0
		.amdhsa_float_round_mode_32 0
		.amdhsa_float_round_mode_16_64 0
		.amdhsa_float_denorm_mode_32 3
		.amdhsa_float_denorm_mode_16_64 3
		.amdhsa_dx10_clamp 1
		.amdhsa_ieee_mode 1
		.amdhsa_fp16_overflow 0
		.amdhsa_exception_fp_ieee_invalid_op 0
		.amdhsa_exception_fp_denorm_src 0
		.amdhsa_exception_fp_ieee_div_zero 0
		.amdhsa_exception_fp_ieee_overflow 0
		.amdhsa_exception_fp_ieee_underflow 0
		.amdhsa_exception_fp_ieee_inexact 0
		.amdhsa_exception_int_div_zero 0
	.end_amdhsa_kernel
	.text
.Lfunc_end0:
	.size	fft_rtc_fwd_len1020_factors_2_17_2_3_5_wgs_204_tpt_68_halfLds_half_ip_CI_sbrr_dirReg, .Lfunc_end0-fft_rtc_fwd_len1020_factors_2_17_2_3_5_wgs_204_tpt_68_halfLds_half_ip_CI_sbrr_dirReg
                                        ; -- End function
	.section	.AMDGPU.csdata,"",@progbits
; Kernel info:
; codeLenInByte = 14692
; NumSgprs: 28
; NumVgprs: 103
; ScratchSize: 0
; MemoryBound: 0
; FloatMode: 240
; IeeeMode: 1
; LDSByteSize: 0 bytes/workgroup (compile time only)
; SGPRBlocks: 3
; VGPRBlocks: 25
; NumSGPRsForWavesPerEU: 28
; NumVGPRsForWavesPerEU: 103
; Occupancy: 2
; WaveLimiterHint : 1
; COMPUTE_PGM_RSRC2:SCRATCH_EN: 0
; COMPUTE_PGM_RSRC2:USER_SGPR: 6
; COMPUTE_PGM_RSRC2:TRAP_HANDLER: 0
; COMPUTE_PGM_RSRC2:TGID_X_EN: 1
; COMPUTE_PGM_RSRC2:TGID_Y_EN: 0
; COMPUTE_PGM_RSRC2:TGID_Z_EN: 0
; COMPUTE_PGM_RSRC2:TIDIG_COMP_CNT: 0
	.type	__hip_cuid_39278e0d86efdab4,@object ; @__hip_cuid_39278e0d86efdab4
	.section	.bss,"aw",@nobits
	.globl	__hip_cuid_39278e0d86efdab4
__hip_cuid_39278e0d86efdab4:
	.byte	0                               ; 0x0
	.size	__hip_cuid_39278e0d86efdab4, 1

	.ident	"AMD clang version 19.0.0git (https://github.com/RadeonOpenCompute/llvm-project roc-6.4.0 25133 c7fe45cf4b819c5991fe208aaa96edf142730f1d)"
	.section	".note.GNU-stack","",@progbits
	.addrsig
	.addrsig_sym __hip_cuid_39278e0d86efdab4
	.amdgpu_metadata
---
amdhsa.kernels:
  - .args:
      - .actual_access:  read_only
        .address_space:  global
        .offset:         0
        .size:           8
        .value_kind:     global_buffer
      - .offset:         8
        .size:           8
        .value_kind:     by_value
      - .actual_access:  read_only
        .address_space:  global
        .offset:         16
        .size:           8
        .value_kind:     global_buffer
      - .actual_access:  read_only
        .address_space:  global
        .offset:         24
        .size:           8
        .value_kind:     global_buffer
      - .offset:         32
        .size:           8
        .value_kind:     by_value
      - .actual_access:  read_only
        .address_space:  global
        .offset:         40
        .size:           8
        .value_kind:     global_buffer
      - .actual_access:  read_only
        .address_space:  global
        .offset:         48
        .size:           8
        .value_kind:     global_buffer
      - .offset:         56
        .size:           4
        .value_kind:     by_value
      - .actual_access:  read_only
        .address_space:  global
        .offset:         64
        .size:           8
        .value_kind:     global_buffer
      - .actual_access:  read_only
        .address_space:  global
        .offset:         72
        .size:           8
        .value_kind:     global_buffer
      - .address_space:  global
        .offset:         80
        .size:           8
        .value_kind:     global_buffer
    .group_segment_fixed_size: 0
    .kernarg_segment_align: 8
    .kernarg_segment_size: 88
    .language:       OpenCL C
    .language_version:
      - 2
      - 0
    .max_flat_workgroup_size: 204
    .name:           fft_rtc_fwd_len1020_factors_2_17_2_3_5_wgs_204_tpt_68_halfLds_half_ip_CI_sbrr_dirReg
    .private_segment_fixed_size: 0
    .sgpr_count:     28
    .sgpr_spill_count: 0
    .symbol:         fft_rtc_fwd_len1020_factors_2_17_2_3_5_wgs_204_tpt_68_halfLds_half_ip_CI_sbrr_dirReg.kd
    .uniform_work_group_size: 1
    .uses_dynamic_stack: false
    .vgpr_count:     103
    .vgpr_spill_count: 0
    .wavefront_size: 64
amdhsa.target:   amdgcn-amd-amdhsa--gfx906
amdhsa.version:
  - 1
  - 2
...

	.end_amdgpu_metadata
